;; amdgpu-corpus repo=ROCm/rocFFT kind=compiled arch=gfx906 opt=O3
	.text
	.amdgcn_target "amdgcn-amd-amdhsa--gfx906"
	.amdhsa_code_object_version 6
	.protected	fft_rtc_back_len2160_factors_10_6_6_6_wgs_60_tpt_60_halfLds_half_op_CI_CI_sbrr_dirReg ; -- Begin function fft_rtc_back_len2160_factors_10_6_6_6_wgs_60_tpt_60_halfLds_half_op_CI_CI_sbrr_dirReg
	.globl	fft_rtc_back_len2160_factors_10_6_6_6_wgs_60_tpt_60_halfLds_half_op_CI_CI_sbrr_dirReg
	.p2align	8
	.type	fft_rtc_back_len2160_factors_10_6_6_6_wgs_60_tpt_60_halfLds_half_op_CI_CI_sbrr_dirReg,@function
fft_rtc_back_len2160_factors_10_6_6_6_wgs_60_tpt_60_halfLds_half_op_CI_CI_sbrr_dirReg: ; @fft_rtc_back_len2160_factors_10_6_6_6_wgs_60_tpt_60_halfLds_half_op_CI_CI_sbrr_dirReg
; %bb.0:
	s_load_dwordx4 s[16:19], s[4:5], 0x18
	s_load_dwordx4 s[12:15], s[4:5], 0x0
	;; [unrolled: 1-line block ×3, first 2 shown]
	v_mul_u32_u24_e32 v1, 0x445, v0
	v_mov_b32_e32 v7, 0
	s_waitcnt lgkmcnt(0)
	s_load_dwordx2 s[20:21], s[16:17], 0x0
	s_load_dwordx2 s[2:3], s[18:19], 0x0
	v_cmp_lt_u64_e64 s[0:1], s[14:15], 2
	v_mov_b32_e32 v5, 0
	v_add_u32_sdwa v9, s6, v1 dst_sel:DWORD dst_unused:UNUSED_PAD src0_sel:DWORD src1_sel:WORD_1
	v_mov_b32_e32 v10, v7
	s_and_b64 vcc, exec, s[0:1]
	v_mov_b32_e32 v6, 0
	s_cbranch_vccnz .LBB0_8
; %bb.1:
	s_load_dwordx2 s[0:1], s[4:5], 0x10
	s_add_u32 s6, s18, 8
	s_addc_u32 s7, s19, 0
	s_add_u32 s22, s16, 8
	s_addc_u32 s23, s17, 0
	v_mov_b32_e32 v5, 0
	s_waitcnt lgkmcnt(0)
	s_add_u32 s24, s0, 8
	v_mov_b32_e32 v6, 0
	v_mov_b32_e32 v1, v5
	s_addc_u32 s25, s1, 0
	s_mov_b64 s[26:27], 1
	v_mov_b32_e32 v2, v6
.LBB0_2:                                ; =>This Inner Loop Header: Depth=1
	s_load_dwordx2 s[28:29], s[24:25], 0x0
                                        ; implicit-def: $vgpr3_vgpr4
	s_waitcnt lgkmcnt(0)
	v_or_b32_e32 v8, s29, v10
	v_cmp_ne_u64_e32 vcc, 0, v[7:8]
	s_and_saveexec_b64 s[0:1], vcc
	s_xor_b64 s[30:31], exec, s[0:1]
	s_cbranch_execz .LBB0_4
; %bb.3:                                ;   in Loop: Header=BB0_2 Depth=1
	v_cvt_f32_u32_e32 v3, s28
	v_cvt_f32_u32_e32 v4, s29
	s_sub_u32 s0, 0, s28
	s_subb_u32 s1, 0, s29
	v_mac_f32_e32 v3, 0x4f800000, v4
	v_rcp_f32_e32 v3, v3
	v_mul_f32_e32 v3, 0x5f7ffffc, v3
	v_mul_f32_e32 v4, 0x2f800000, v3
	v_trunc_f32_e32 v4, v4
	v_mac_f32_e32 v3, 0xcf800000, v4
	v_cvt_u32_f32_e32 v4, v4
	v_cvt_u32_f32_e32 v3, v3
	v_mul_lo_u32 v8, s0, v4
	v_mul_hi_u32 v11, s0, v3
	v_mul_lo_u32 v13, s1, v3
	v_mul_lo_u32 v12, s0, v3
	v_add_u32_e32 v8, v11, v8
	v_add_u32_e32 v8, v8, v13
	v_mul_hi_u32 v11, v3, v12
	v_mul_lo_u32 v13, v3, v8
	v_mul_hi_u32 v15, v3, v8
	v_mul_hi_u32 v14, v4, v12
	v_mul_lo_u32 v12, v4, v12
	v_mul_hi_u32 v16, v4, v8
	v_add_co_u32_e32 v11, vcc, v11, v13
	v_addc_co_u32_e32 v13, vcc, 0, v15, vcc
	v_mul_lo_u32 v8, v4, v8
	v_add_co_u32_e32 v11, vcc, v11, v12
	v_addc_co_u32_e32 v11, vcc, v13, v14, vcc
	v_addc_co_u32_e32 v12, vcc, 0, v16, vcc
	v_add_co_u32_e32 v8, vcc, v11, v8
	v_addc_co_u32_e32 v11, vcc, 0, v12, vcc
	v_add_co_u32_e32 v3, vcc, v3, v8
	v_addc_co_u32_e32 v4, vcc, v4, v11, vcc
	v_mul_lo_u32 v8, s0, v4
	v_mul_hi_u32 v11, s0, v3
	v_mul_lo_u32 v12, s1, v3
	v_mul_lo_u32 v13, s0, v3
	v_add_u32_e32 v8, v11, v8
	v_add_u32_e32 v8, v8, v12
	v_mul_lo_u32 v14, v3, v8
	v_mul_hi_u32 v15, v3, v13
	v_mul_hi_u32 v16, v3, v8
	;; [unrolled: 1-line block ×3, first 2 shown]
	v_mul_lo_u32 v13, v4, v13
	v_mul_hi_u32 v11, v4, v8
	v_add_co_u32_e32 v14, vcc, v15, v14
	v_addc_co_u32_e32 v15, vcc, 0, v16, vcc
	v_mul_lo_u32 v8, v4, v8
	v_add_co_u32_e32 v13, vcc, v14, v13
	v_addc_co_u32_e32 v12, vcc, v15, v12, vcc
	v_addc_co_u32_e32 v11, vcc, 0, v11, vcc
	v_add_co_u32_e32 v8, vcc, v12, v8
	v_addc_co_u32_e32 v11, vcc, 0, v11, vcc
	v_add_co_u32_e32 v8, vcc, v3, v8
	v_addc_co_u32_e32 v11, vcc, v4, v11, vcc
	v_mad_u64_u32 v[3:4], s[0:1], v9, v11, 0
	v_mul_hi_u32 v12, v9, v8
	v_add_co_u32_e32 v13, vcc, v12, v3
	v_addc_co_u32_e32 v14, vcc, 0, v4, vcc
	v_mad_u64_u32 v[3:4], s[0:1], v10, v8, 0
	v_mad_u64_u32 v[11:12], s[0:1], v10, v11, 0
	v_add_co_u32_e32 v3, vcc, v13, v3
	v_addc_co_u32_e32 v3, vcc, v14, v4, vcc
	v_addc_co_u32_e32 v4, vcc, 0, v12, vcc
	v_add_co_u32_e32 v8, vcc, v3, v11
	v_addc_co_u32_e32 v11, vcc, 0, v4, vcc
	v_mul_lo_u32 v12, s29, v8
	v_mul_lo_u32 v13, s28, v11
	v_mad_u64_u32 v[3:4], s[0:1], s28, v8, 0
	v_add3_u32 v4, v4, v13, v12
	v_sub_u32_e32 v12, v10, v4
	v_mov_b32_e32 v13, s29
	v_sub_co_u32_e32 v3, vcc, v9, v3
	v_subb_co_u32_e64 v12, s[0:1], v12, v13, vcc
	v_subrev_co_u32_e64 v13, s[0:1], s28, v3
	v_subbrev_co_u32_e64 v12, s[0:1], 0, v12, s[0:1]
	v_cmp_le_u32_e64 s[0:1], s29, v12
	v_cndmask_b32_e64 v14, 0, -1, s[0:1]
	v_cmp_le_u32_e64 s[0:1], s28, v13
	v_cndmask_b32_e64 v13, 0, -1, s[0:1]
	v_cmp_eq_u32_e64 s[0:1], s29, v12
	v_cndmask_b32_e64 v12, v14, v13, s[0:1]
	v_add_co_u32_e64 v13, s[0:1], 2, v8
	v_addc_co_u32_e64 v14, s[0:1], 0, v11, s[0:1]
	v_add_co_u32_e64 v15, s[0:1], 1, v8
	v_addc_co_u32_e64 v16, s[0:1], 0, v11, s[0:1]
	v_subb_co_u32_e32 v4, vcc, v10, v4, vcc
	v_cmp_ne_u32_e64 s[0:1], 0, v12
	v_cmp_le_u32_e32 vcc, s29, v4
	v_cndmask_b32_e64 v12, v16, v14, s[0:1]
	v_cndmask_b32_e64 v14, 0, -1, vcc
	v_cmp_le_u32_e32 vcc, s28, v3
	v_cndmask_b32_e64 v3, 0, -1, vcc
	v_cmp_eq_u32_e32 vcc, s29, v4
	v_cndmask_b32_e32 v3, v14, v3, vcc
	v_cmp_ne_u32_e32 vcc, 0, v3
	v_cndmask_b32_e64 v3, v15, v13, s[0:1]
	v_cndmask_b32_e32 v4, v11, v12, vcc
	v_cndmask_b32_e32 v3, v8, v3, vcc
.LBB0_4:                                ;   in Loop: Header=BB0_2 Depth=1
	s_andn2_saveexec_b64 s[0:1], s[30:31]
	s_cbranch_execz .LBB0_6
; %bb.5:                                ;   in Loop: Header=BB0_2 Depth=1
	v_cvt_f32_u32_e32 v3, s28
	s_sub_i32 s30, 0, s28
	v_rcp_iflag_f32_e32 v3, v3
	v_mul_f32_e32 v3, 0x4f7ffffe, v3
	v_cvt_u32_f32_e32 v3, v3
	v_mul_lo_u32 v4, s30, v3
	v_mul_hi_u32 v4, v3, v4
	v_add_u32_e32 v3, v3, v4
	v_mul_hi_u32 v3, v9, v3
	v_mul_lo_u32 v4, v3, s28
	v_add_u32_e32 v8, 1, v3
	v_sub_u32_e32 v4, v9, v4
	v_subrev_u32_e32 v11, s28, v4
	v_cmp_le_u32_e32 vcc, s28, v4
	v_cndmask_b32_e32 v4, v4, v11, vcc
	v_cndmask_b32_e32 v3, v3, v8, vcc
	v_add_u32_e32 v8, 1, v3
	v_cmp_le_u32_e32 vcc, s28, v4
	v_cndmask_b32_e32 v3, v3, v8, vcc
	v_mov_b32_e32 v4, v7
.LBB0_6:                                ;   in Loop: Header=BB0_2 Depth=1
	s_or_b64 exec, exec, s[0:1]
	v_mul_lo_u32 v8, v4, s28
	v_mul_lo_u32 v13, v3, s29
	v_mad_u64_u32 v[11:12], s[0:1], v3, s28, 0
	s_load_dwordx2 s[0:1], s[22:23], 0x0
	s_load_dwordx2 s[28:29], s[6:7], 0x0
	v_add3_u32 v8, v12, v13, v8
	v_sub_co_u32_e32 v9, vcc, v9, v11
	v_subb_co_u32_e32 v8, vcc, v10, v8, vcc
	s_waitcnt lgkmcnt(0)
	v_mul_lo_u32 v10, s0, v8
	v_mul_lo_u32 v11, s1, v9
	v_mad_u64_u32 v[5:6], s[0:1], s0, v9, v[5:6]
	v_mul_lo_u32 v8, s28, v8
	v_mul_lo_u32 v12, s29, v9
	v_mad_u64_u32 v[1:2], s[0:1], s28, v9, v[1:2]
	s_add_u32 s26, s26, 1
	s_addc_u32 s27, s27, 0
	s_add_u32 s6, s6, 8
	v_add3_u32 v2, v12, v2, v8
	s_addc_u32 s7, s7, 0
	v_mov_b32_e32 v8, s14
	s_add_u32 s22, s22, 8
	v_mov_b32_e32 v9, s15
	s_addc_u32 s23, s23, 0
	v_cmp_ge_u64_e32 vcc, s[26:27], v[8:9]
	s_add_u32 s24, s24, 8
	v_add3_u32 v6, v11, v6, v10
	s_addc_u32 s25, s25, 0
	s_cbranch_vccnz .LBB0_9
; %bb.7:                                ;   in Loop: Header=BB0_2 Depth=1
	v_mov_b32_e32 v10, v4
	v_mov_b32_e32 v9, v3
	s_branch .LBB0_2
.LBB0_8:
	v_mov_b32_e32 v1, v5
	v_mov_b32_e32 v3, v9
	;; [unrolled: 1-line block ×4, first 2 shown]
.LBB0_9:
	s_load_dwordx2 s[0:1], s[4:5], 0x28
	s_lshl_b64 s[14:15], s[14:15], 3
	s_add_u32 s4, s18, s14
	s_addc_u32 s5, s19, s15
                                        ; implicit-def: $vgpr7
                                        ; implicit-def: $vgpr8
                                        ; implicit-def: $vgpr9
	s_waitcnt lgkmcnt(0)
	v_cmp_gt_u64_e32 vcc, s[0:1], v[3:4]
	v_cmp_le_u64_e64 s[0:1], s[0:1], v[3:4]
	s_and_saveexec_b64 s[6:7], s[0:1]
	s_xor_b64 s[0:1], exec, s[6:7]
; %bb.10:
	s_mov_b32 s6, 0x4444445
	v_mul_hi_u32 v5, v0, s6
	v_mul_u32_u24_e32 v5, 60, v5
	v_sub_u32_e32 v7, v0, v5
	v_add_u32_e32 v8, 60, v7
	v_add_u32_e32 v9, 0x78, v7
                                        ; implicit-def: $vgpr0
                                        ; implicit-def: $vgpr5_vgpr6
; %bb.11:
	s_or_saveexec_b64 s[6:7], s[0:1]
	s_load_dwordx2 s[4:5], s[4:5], 0x0
                                        ; implicit-def: $vgpr29
                                        ; implicit-def: $vgpr64
                                        ; implicit-def: $vgpr34
                                        ; implicit-def: $vgpr35
                                        ; implicit-def: $vgpr28
                                        ; implicit-def: $vgpr56
                                        ; implicit-def: $vgpr33
                                        ; implicit-def: $vgpr24
                                        ; implicit-def: $vgpr27
                                        ; implicit-def: $vgpr54
                                        ; implicit-def: $vgpr32
                                        ; implicit-def: $vgpr22
                                        ; implicit-def: $vgpr26
                                        ; implicit-def: $vgpr53
                                        ; implicit-def: $vgpr30
                                        ; implicit-def: $vgpr23
                                        ; implicit-def: $vgpr25
                                        ; implicit-def: $vgpr52
                                        ; implicit-def: $vgpr31
                                        ; implicit-def: $vgpr55
                                        ; implicit-def: $vgpr59
                                        ; implicit-def: $vgpr49
                                        ; implicit-def: $vgpr65
                                        ; implicit-def: $vgpr19
                                        ; implicit-def: $vgpr60
                                        ; implicit-def: $vgpr48
                                        ; implicit-def: $vgpr66
                                        ; implicit-def: $vgpr20
                                        ; implicit-def: $vgpr61
                                        ; implicit-def: $vgpr50
                                        ; implicit-def: $vgpr67
                                        ; implicit-def: $vgpr21
                                        ; implicit-def: $vgpr62
                                        ; implicit-def: $vgpr44
                                        ; implicit-def: $vgpr68
                                        ; implicit-def: $vgpr16
                                        ; implicit-def: $vgpr63
                                        ; implicit-def: $vgpr45
                                        ; implicit-def: $vgpr69
                                        ; implicit-def: $vgpr47
                                        ; implicit-def: $vgpr70
                                        ; implicit-def: $vgpr57
                                        ; implicit-def: $vgpr75
                                        ; implicit-def: $vgpr17
                                        ; implicit-def: $vgpr71
                                        ; implicit-def: $vgpr58
                                        ; implicit-def: $vgpr76
                                        ; implicit-def: $vgpr18
                                        ; implicit-def: $vgpr72
                                        ; implicit-def: $vgpr40
                                        ; implicit-def: $vgpr77
                                        ; implicit-def: $vgpr13
                                        ; implicit-def: $vgpr73
                                        ; implicit-def: $vgpr41
                                        ; implicit-def: $vgpr78
                                        ; implicit-def: $vgpr14
                                        ; implicit-def: $vgpr74
                                        ; implicit-def: $vgpr42
                                        ; implicit-def: $vgpr79
                                        ; implicit-def: $vgpr46
                                        ; implicit-def: $vgpr80
                                        ; implicit-def: $vgpr51
                                        ; implicit-def: $vgpr85
                                        ; implicit-def: $vgpr15
                                        ; implicit-def: $vgpr81
                                        ; implicit-def: $vgpr36
                                        ; implicit-def: $vgpr86
                                        ; implicit-def: $vgpr10
                                        ; implicit-def: $vgpr82
                                        ; implicit-def: $vgpr37
                                        ; implicit-def: $vgpr87
                                        ; implicit-def: $vgpr11
                                        ; implicit-def: $vgpr83
                                        ; implicit-def: $vgpr38
                                        ; implicit-def: $vgpr88
                                        ; implicit-def: $vgpr12
                                        ; implicit-def: $vgpr84
                                        ; implicit-def: $vgpr39
                                        ; implicit-def: $vgpr89
                                        ; implicit-def: $vgpr43
	s_xor_b64 exec, exec, s[6:7]
	s_cbranch_execz .LBB0_15
; %bb.12:
	s_add_u32 s0, s16, s14
	s_mov_b32 s14, 0x4444445
	v_mul_hi_u32 v7, v0, s14
	s_addc_u32 s1, s17, s15
	s_load_dwordx2 s[0:1], s[0:1], 0x0
	v_lshlrev_b64 v[5:6], 2, v[5:6]
	v_mul_u32_u24_e32 v7, 60, v7
	v_sub_u32_e32 v7, v0, v7
	v_mad_u64_u32 v[8:9], s[14:15], s20, v7, 0
	s_waitcnt lgkmcnt(0)
	v_mul_lo_u32 v14, s1, v3
	v_mul_lo_u32 v15, s0, v4
	v_mad_u64_u32 v[10:11], s[0:1], s0, v3, 0
	v_mov_b32_e32 v0, v9
	v_mad_u64_u32 v[12:13], s[0:1], s21, v7, v[0:1]
	v_add3_u32 v11, v11, v15, v14
	v_lshlrev_b64 v[10:11], 2, v[10:11]
	v_mov_b32_e32 v9, v12
	v_mov_b32_e32 v0, s9
	v_add_co_u32_e64 v12, s[0:1], s8, v10
	v_add_u32_e32 v14, 0xd8, v7
	v_addc_co_u32_e64 v13, s[0:1], v0, v11, s[0:1]
	v_mad_u64_u32 v[10:11], s[0:1], s20, v14, 0
	v_add_co_u32_e64 v0, s[0:1], v12, v5
	v_addc_co_u32_e64 v5, s[0:1], v13, v6, s[0:1]
	v_mov_b32_e32 v6, v11
	v_mad_u64_u32 v[11:12], s[0:1], s21, v14, v[6:7]
	v_add_u32_e32 v14, 0x1b0, v7
	v_mad_u64_u32 v[12:13], s[0:1], s20, v14, 0
	v_lshlrev_b64 v[8:9], 2, v[8:9]
	v_add_u32_e32 v18, 0x288, v7
	v_add_co_u32_e64 v8, s[0:1], v0, v8
	v_mov_b32_e32 v6, v13
	v_addc_co_u32_e64 v9, s[0:1], v5, v9, s[0:1]
	v_mad_u64_u32 v[13:14], s[0:1], s21, v14, v[6:7]
	v_mad_u64_u32 v[14:15], s[0:1], s20, v18, 0
	v_lshlrev_b64 v[10:11], 2, v[10:11]
                                        ; implicit-def: $vgpr55
                                        ; implicit-def: $vgpr54
                                        ; implicit-def: $vgpr56
                                        ; implicit-def: $vgpr64
	v_add_co_u32_e64 v16, s[0:1], v0, v10
	v_mov_b32_e32 v6, v15
	v_addc_co_u32_e64 v17, s[0:1], v5, v11, s[0:1]
	v_lshlrev_b64 v[10:11], 2, v[12:13]
	v_mad_u64_u32 v[12:13], s[0:1], s21, v18, v[6:7]
	v_add_u32_e32 v13, 0x360, v7
	v_mad_u64_u32 v[18:19], s[0:1], s20, v13, 0
	v_add_co_u32_e64 v20, s[0:1], v0, v10
	v_mov_b32_e32 v15, v12
	v_mov_b32_e32 v6, v19
	v_addc_co_u32_e64 v21, s[0:1], v5, v11, s[0:1]
	v_lshlrev_b64 v[10:11], 2, v[14:15]
	v_mad_u64_u32 v[12:13], s[0:1], s21, v13, v[6:7]
	v_add_u32_e32 v15, 0x438, v7
	v_mad_u64_u32 v[13:14], s[0:1], s20, v15, 0
	v_add_co_u32_e64 v22, s[0:1], v0, v10
	v_mov_b32_e32 v19, v12
	v_add_u32_e32 v12, 0x510, v7
	v_addc_co_u32_e64 v23, s[0:1], v5, v11, s[0:1]
	v_lshlrev_b64 v[10:11], 2, v[18:19]
	v_mov_b32_e32 v6, v14
	v_mad_u64_u32 v[18:19], s[0:1], s20, v12, 0
	v_mad_u64_u32 v[14:15], s[0:1], s21, v15, v[6:7]
	v_add_co_u32_e64 v24, s[0:1], v0, v10
	v_mov_b32_e32 v6, v19
	v_addc_co_u32_e64 v25, s[0:1], v5, v11, s[0:1]
	v_lshlrev_b64 v[10:11], 2, v[13:14]
	v_mad_u64_u32 v[12:13], s[0:1], s21, v12, v[6:7]
	v_add_u32_e32 v15, 0x5e8, v7
	v_mad_u64_u32 v[13:14], s[0:1], s20, v15, 0
	v_add_co_u32_e64 v26, s[0:1], v0, v10
	v_mov_b32_e32 v6, v14
	v_addc_co_u32_e64 v27, s[0:1], v5, v11, s[0:1]
	v_mov_b32_e32 v19, v12
	v_mad_u64_u32 v[14:15], s[0:1], s21, v15, v[6:7]
	v_lshlrev_b64 v[10:11], 2, v[18:19]
	v_or_b32_e32 v12, 0x6c0, v7
	v_add_co_u32_e64 v18, s[0:1], v0, v10
	v_addc_co_u32_e64 v19, s[0:1], v5, v11, s[0:1]
	v_lshlrev_b64 v[10:11], 2, v[13:14]
	v_mad_u64_u32 v[13:14], s[0:1], s20, v12, 0
	v_add_co_u32_e64 v28, s[0:1], v0, v10
	v_mov_b32_e32 v6, v14
	v_addc_co_u32_e64 v29, s[0:1], v5, v11, s[0:1]
	v_mad_u64_u32 v[14:15], s[0:1], s21, v12, v[6:7]
	v_add_u32_e32 v15, 0x798, v7
	v_mad_u64_u32 v[30:31], s[0:1], s20, v15, 0
	global_load_dword v43, v[8:9], off
	global_load_dword v39, v[16:17], off
	;; [unrolled: 1-line block ×8, first 2 shown]
	v_add_u32_e32 v8, 60, v7
	v_mov_b32_e32 v6, v31
	v_mad_u64_u32 v[15:16], s[0:1], s21, v15, v[6:7]
	v_mad_u64_u32 v[16:17], s[0:1], s20, v8, 0
	v_lshlrev_b64 v[13:14], 2, v[13:14]
	v_add_u32_e32 v9, 0x114, v7
	v_add_co_u32_e64 v18, s[0:1], v0, v13
	v_mov_b32_e32 v6, v17
	v_addc_co_u32_e64 v19, s[0:1], v5, v14, s[0:1]
	v_mad_u64_u32 v[20:21], s[0:1], s21, v8, v[6:7]
	v_mad_u64_u32 v[21:22], s[0:1], s20, v9, 0
	v_mov_b32_e32 v31, v15
	v_lshlrev_b64 v[13:14], 2, v[30:31]
	v_mov_b32_e32 v17, v20
	v_add_co_u32_e64 v23, s[0:1], v0, v13
	v_mov_b32_e32 v6, v22
	v_addc_co_u32_e64 v24, s[0:1], v5, v14, s[0:1]
	v_lshlrev_b64 v[13:14], 2, v[16:17]
	v_mad_u64_u32 v[15:16], s[0:1], s21, v9, v[6:7]
	v_add_u32_e32 v9, 0x1ec, v7
	v_mad_u64_u32 v[16:17], s[0:1], s20, v9, 0
	v_add_co_u32_e64 v25, s[0:1], v0, v13
	v_mov_b32_e32 v22, v15
	v_mov_b32_e32 v6, v17
	v_addc_co_u32_e64 v26, s[0:1], v5, v14, s[0:1]
	v_lshlrev_b64 v[13:14], 2, v[21:22]
	v_mad_u64_u32 v[20:21], s[0:1], s21, v9, v[6:7]
	v_add_u32_e32 v9, 0x2c4, v7
	v_mad_u64_u32 v[21:22], s[0:1], s20, v9, 0
	v_add_co_u32_e64 v27, s[0:1], v0, v13
	v_mov_b32_e32 v17, v20
	v_mov_b32_e32 v6, v22
	v_addc_co_u32_e64 v28, s[0:1], v5, v14, s[0:1]
	v_lshlrev_b64 v[13:14], 2, v[16:17]
	v_mad_u64_u32 v[15:16], s[0:1], s21, v9, v[6:7]
	v_add_u32_e32 v9, 0x39c, v7
	v_mad_u64_u32 v[16:17], s[0:1], s20, v9, 0
	v_add_co_u32_e64 v29, s[0:1], v0, v13
	v_mov_b32_e32 v22, v15
	v_mov_b32_e32 v6, v17
	v_addc_co_u32_e64 v30, s[0:1], v5, v14, s[0:1]
	v_lshlrev_b64 v[13:14], 2, v[21:22]
	v_mad_u64_u32 v[20:21], s[0:1], s21, v9, v[6:7]
	v_add_u32_e32 v9, 0x474, v7
	v_mad_u64_u32 v[21:22], s[0:1], s20, v9, 0
	v_add_co_u32_e64 v31, s[0:1], v0, v13
	v_mov_b32_e32 v17, v20
	v_mov_b32_e32 v6, v22
	v_addc_co_u32_e64 v32, s[0:1], v5, v14, s[0:1]
	v_lshlrev_b64 v[13:14], 2, v[16:17]
	v_mad_u64_u32 v[15:16], s[0:1], s21, v9, v[6:7]
	v_add_co_u32_e64 v16, s[0:1], v0, v13
	v_mov_b32_e32 v22, v15
	v_add_u32_e32 v9, 0x54c, v7
	v_addc_co_u32_e64 v17, s[0:1], v5, v14, s[0:1]
	v_lshlrev_b64 v[13:14], 2, v[21:22]
	v_mad_u64_u32 v[20:21], s[0:1], s20, v9, 0
	v_add_co_u32_e64 v33, s[0:1], v0, v13
	v_mov_b32_e32 v6, v21
	v_addc_co_u32_e64 v34, s[0:1], v5, v14, s[0:1]
	v_mad_u64_u32 v[21:22], s[0:1], s21, v9, v[6:7]
	v_add_u32_e32 v9, 0x624, v7
	v_mad_u64_u32 v[44:45], s[0:1], s20, v9, 0
	global_load_dword v15, v[18:19], off
	global_load_dword v51, v[23:24], off
	;; [unrolled: 1-line block ×8, first 2 shown]
	v_lshlrev_b64 v[16:17], 2, v[20:21]
	v_mov_b32_e32 v6, v45
	v_mad_u64_u32 v[18:19], s[0:1], s21, v9, v[6:7]
	v_add_u32_e32 v9, 0x6fc, v7
	v_mad_u64_u32 v[19:20], s[0:1], s20, v9, 0
	v_add_co_u32_e64 v21, s[0:1], v0, v16
	v_mov_b32_e32 v6, v20
	v_addc_co_u32_e64 v22, s[0:1], v5, v17, s[0:1]
	v_mad_u64_u32 v[23:24], s[0:1], s21, v9, v[6:7]
	v_add_u32_e32 v9, 0x7d4, v7
	v_mad_u64_u32 v[24:25], s[0:1], s20, v9, 0
	v_mov_b32_e32 v45, v18
	v_lshlrev_b64 v[16:17], 2, v[44:45]
	v_mov_b32_e32 v20, v23
	v_add_co_u32_e64 v26, s[0:1], v0, v16
	v_mov_b32_e32 v6, v25
	v_addc_co_u32_e64 v27, s[0:1], v5, v17, s[0:1]
	v_lshlrev_b64 v[16:17], 2, v[19:20]
	v_mad_u64_u32 v[18:19], s[0:1], s21, v9, v[6:7]
	v_add_u32_e32 v9, 0x78, v7
	v_mad_u64_u32 v[19:20], s[0:1], s20, v9, 0
	v_add_co_u32_e64 v28, s[0:1], v0, v16
	v_mov_b32_e32 v25, v18
	v_mov_b32_e32 v6, v20
	v_addc_co_u32_e64 v29, s[0:1], v5, v17, s[0:1]
	v_lshlrev_b64 v[16:17], 2, v[24:25]
	v_mad_u64_u32 v[23:24], s[0:1], s21, v9, v[6:7]
	v_add_u32_e32 v18, 0x150, v7
	v_mad_u64_u32 v[24:25], s[0:1], s20, v18, 0
	v_add_co_u32_e64 v30, s[0:1], v0, v16
	v_mov_b32_e32 v20, v23
	;; [unrolled: 8-line block ×3, first 2 shown]
	v_mov_b32_e32 v6, v20
	v_addc_co_u32_e64 v33, s[0:1], v5, v17, s[0:1]
	v_lshlrev_b64 v[16:17], 2, v[24:25]
	v_mad_u64_u32 v[23:24], s[0:1], s21, v23, v[6:7]
	v_or_b32_e32 v18, 0x300, v7
	v_mad_u64_u32 v[24:25], s[0:1], s20, v18, 0
	v_add_co_u32_e64 v34, s[0:1], v0, v16
	v_mov_b32_e32 v20, v23
	v_mov_b32_e32 v6, v25
	v_addc_co_u32_e64 v35, s[0:1], v5, v17, s[0:1]
	v_lshlrev_b64 v[16:17], 2, v[19:20]
	v_mad_u64_u32 v[18:19], s[0:1], s21, v18, v[6:7]
	v_add_co_u32_e64 v19, s[0:1], v0, v16
	v_mov_b32_e32 v25, v18
	v_add_u32_e32 v18, 0x3d8, v7
	v_addc_co_u32_e64 v20, s[0:1], v5, v17, s[0:1]
	v_lshlrev_b64 v[16:17], 2, v[24:25]
	v_mad_u64_u32 v[23:24], s[0:1], s20, v18, 0
	v_add_co_u32_e64 v48, s[0:1], v0, v16
	v_mov_b32_e32 v6, v24
	v_addc_co_u32_e64 v49, s[0:1], v5, v17, s[0:1]
	v_mad_u64_u32 v[24:25], s[0:1], s21, v18, v[6:7]
	v_add_u32_e32 v25, 0x4b0, v7
	v_mad_u64_u32 v[52:53], s[0:1], s20, v25, 0
	global_load_dword v18, v[21:22], off
	global_load_dword v58, v[26:27], off
	;; [unrolled: 1-line block ×8, first 2 shown]
	v_add_u32_e32 v26, 0x588, v7
	v_mov_b32_e32 v6, v53
	v_mad_u64_u32 v[21:22], s[0:1], s21, v25, v[6:7]
	v_lshlrev_b64 v[19:20], 2, v[23:24]
	v_mad_u64_u32 v[22:23], s[0:1], s20, v26, 0
	v_add_co_u32_e64 v24, s[0:1], v0, v19
	v_mov_b32_e32 v6, v23
	v_addc_co_u32_e64 v25, s[0:1], v5, v20, s[0:1]
	v_mov_b32_e32 v53, v21
	v_mad_u64_u32 v[26:27], s[0:1], s21, v26, v[6:7]
	v_add_u32_e32 v21, 0x660, v7
	v_mad_u64_u32 v[27:28], s[0:1], s20, v21, 0
	v_lshlrev_b64 v[19:20], 2, v[52:53]
	v_mov_b32_e32 v23, v26
	v_add_co_u32_e64 v29, s[0:1], v0, v19
	v_mov_b32_e32 v6, v28
	v_addc_co_u32_e64 v30, s[0:1], v5, v20, s[0:1]
	v_lshlrev_b64 v[19:20], 2, v[22:23]
	v_mad_u64_u32 v[21:22], s[0:1], s21, v21, v[6:7]
	v_add_u32_e32 v26, 0x738, v7
	v_mad_u64_u32 v[22:23], s[0:1], s20, v26, 0
	v_add_co_u32_e64 v31, s[0:1], v0, v19
	v_mov_b32_e32 v28, v21
	v_mov_b32_e32 v6, v23
	v_addc_co_u32_e64 v32, s[0:1], v5, v20, s[0:1]
	v_lshlrev_b64 v[19:20], 2, v[27:28]
	v_mad_u64_u32 v[26:27], s[0:1], s21, v26, v[6:7]
	v_add_u32_e32 v21, 0x810, v7
	v_mad_u64_u32 v[27:28], s[0:1], s20, v21, 0
	v_add_co_u32_e64 v33, s[0:1], v0, v19
	v_mov_b32_e32 v23, v26
	v_mov_b32_e32 v6, v28
	v_addc_co_u32_e64 v34, s[0:1], v5, v20, s[0:1]
	v_lshlrev_b64 v[19:20], 2, v[22:23]
	v_mad_u64_u32 v[21:22], s[0:1], s21, v21, v[6:7]
	v_add_co_u32_e64 v22, s[0:1], v0, v19
	v_mov_b32_e32 v28, v21
	v_addc_co_u32_e64 v23, s[0:1], v5, v20, s[0:1]
	v_lshlrev_b64 v[19:20], 2, v[27:28]
                                        ; implicit-def: $vgpr52
                                        ; implicit-def: $vgpr53
                                        ; implicit-def: $vgpr28
                                        ; implicit-def: $vgpr35
	v_add_co_u32_e64 v26, s[0:1], v0, v19
	v_addc_co_u32_e64 v27, s[0:1], v5, v20, s[0:1]
	global_load_dword v21, v[24:25], off
	global_load_dword v50, v[29:30], off
	;; [unrolled: 1-line block ×6, first 2 shown]
	v_cmp_gt_u32_e64 s[0:1], 36, v7
                                        ; implicit-def: $vgpr31
                                        ; implicit-def: $vgpr25
                                        ; implicit-def: $vgpr23
                                        ; implicit-def: $vgpr30
                                        ; implicit-def: $vgpr26
                                        ; implicit-def: $vgpr22
                                        ; implicit-def: $vgpr32
                                        ; implicit-def: $vgpr27
                                        ; implicit-def: $vgpr24
                                        ; implicit-def: $vgpr33
                                        ; implicit-def: $vgpr34
                                        ; implicit-def: $vgpr29
	s_and_saveexec_b64 s[8:9], s[0:1]
	s_cbranch_execz .LBB0_14
; %bb.13:
	v_add_u32_e32 v26, 0xb4, v7
	v_mad_u64_u32 v[22:23], s[0:1], s20, v26, 0
	v_add_u32_e32 v28, 0x18c, v7
	v_mad_u64_u32 v[24:25], s[0:1], s20, v28, 0
	v_mov_b32_e32 v6, v23
	v_mad_u64_u32 v[26:27], s[0:1], s21, v26, v[6:7]
	v_mov_b32_e32 v6, v25
	v_add_u32_e32 v30, 0x264, v7
	v_mov_b32_e32 v23, v26
	v_mad_u64_u32 v[25:26], s[0:1], s21, v28, v[6:7]
	v_mad_u64_u32 v[26:27], s[0:1], s20, v30, 0
	v_lshlrev_b64 v[22:23], 2, v[22:23]
	v_add_co_u32_e64 v28, s[0:1], v0, v22
	v_mov_b32_e32 v6, v27
	v_addc_co_u32_e64 v29, s[0:1], v5, v23, s[0:1]
	v_lshlrev_b64 v[22:23], 2, v[24:25]
	v_mad_u64_u32 v[24:25], s[0:1], s21, v30, v[6:7]
	v_add_u32_e32 v25, 0x33c, v7
	v_mad_u64_u32 v[30:31], s[0:1], s20, v25, 0
	v_add_co_u32_e64 v32, s[0:1], v0, v22
	v_mov_b32_e32 v27, v24
	v_mov_b32_e32 v6, v31
	v_addc_co_u32_e64 v33, s[0:1], v5, v23, s[0:1]
	v_lshlrev_b64 v[22:23], 2, v[26:27]
	v_mad_u64_u32 v[24:25], s[0:1], s21, v25, v[6:7]
	v_add_u32_e32 v27, 0x414, v7
	v_mad_u64_u32 v[25:26], s[0:1], s20, v27, 0
	v_add_co_u32_e64 v34, s[0:1], v0, v22
	v_mov_b32_e32 v31, v24
	v_add_u32_e32 v24, 0x4ec, v7
	v_addc_co_u32_e64 v35, s[0:1], v5, v23, s[0:1]
	v_lshlrev_b64 v[22:23], 2, v[30:31]
	v_mov_b32_e32 v6, v26
	v_mad_u64_u32 v[30:31], s[0:1], s20, v24, 0
	v_mad_u64_u32 v[26:27], s[0:1], s21, v27, v[6:7]
	v_add_co_u32_e64 v59, s[0:1], v0, v22
	v_mov_b32_e32 v6, v31
	v_addc_co_u32_e64 v60, s[0:1], v5, v23, s[0:1]
	v_lshlrev_b64 v[22:23], 2, v[25:26]
	v_mad_u64_u32 v[24:25], s[0:1], s21, v24, v[6:7]
	v_add_u32_e32 v27, 0x5c4, v7
	v_mad_u64_u32 v[25:26], s[0:1], s20, v27, 0
	v_add_co_u32_e64 v61, s[0:1], v0, v22
	v_mov_b32_e32 v31, v24
	v_add_u32_e32 v24, 0x69c, v7
	v_addc_co_u32_e64 v62, s[0:1], v5, v23, s[0:1]
	v_lshlrev_b64 v[22:23], 2, v[30:31]
	v_mov_b32_e32 v6, v26
	v_mad_u64_u32 v[30:31], s[0:1], s20, v24, 0
	v_mad_u64_u32 v[26:27], s[0:1], s21, v27, v[6:7]
	v_add_co_u32_e64 v63, s[0:1], v0, v22
	v_mov_b32_e32 v6, v31
	v_addc_co_u32_e64 v64, s[0:1], v5, v23, s[0:1]
	v_lshlrev_b64 v[22:23], 2, v[25:26]
	v_mad_u64_u32 v[24:25], s[0:1], s21, v24, v[6:7]
	v_add_co_u32_e64 v25, s[0:1], v0, v22
	v_mov_b32_e32 v31, v24
	v_add_u32_e32 v24, 0x774, v7
	v_addc_co_u32_e64 v26, s[0:1], v5, v23, s[0:1]
	v_lshlrev_b64 v[22:23], 2, v[30:31]
	v_mad_u64_u32 v[30:31], s[0:1], s20, v24, 0
	v_add_co_u32_e64 v65, s[0:1], v0, v22
	v_mov_b32_e32 v6, v31
	v_addc_co_u32_e64 v66, s[0:1], v5, v23, s[0:1]
	v_mad_u64_u32 v[67:68], s[0:1], s21, v24, v[6:7]
	v_add_u32_e32 v27, 0x84c, v7
	v_mad_u64_u32 v[68:69], s[0:1], s20, v27, 0
	global_load_dword v55, v[28:29], off
	global_load_dword v52, v[32:33], off
	;; [unrolled: 1-line block ×8, first 2 shown]
	v_mov_b32_e32 v31, v67
	v_mov_b32_e32 v6, v69
	v_mad_u64_u32 v[27:28], s[0:1], s21, v27, v[6:7]
	v_lshlrev_b64 v[25:26], 2, v[30:31]
	v_mov_b32_e32 v69, v27
	v_add_co_u32_e64 v25, s[0:1], v0, v25
	v_lshlrev_b64 v[27:28], 2, v[68:69]
	v_addc_co_u32_e64 v26, s[0:1], v5, v26, s[0:1]
	v_add_co_u32_e64 v27, s[0:1], v0, v27
	v_addc_co_u32_e64 v28, s[0:1], v5, v28, s[0:1]
	global_load_dword v35, v[25:26], off
	global_load_dword v64, v[27:28], off
	s_waitcnt vmcnt(9)
	v_lshrrev_b32_e32 v31, 16, v55
	s_waitcnt vmcnt(8)
	v_lshrrev_b32_e32 v25, 16, v52
	;; [unrolled: 2-line block ×10, first 2 shown]
.LBB0_14:
	s_or_b64 exec, exec, s[8:9]
	s_waitcnt vmcnt(29)
	v_lshrrev_b32_e32 v89, 16, v43
	s_waitcnt vmcnt(28)
	v_lshrrev_b32_e32 v84, 16, v39
	;; [unrolled: 2-line block ×30, first 2 shown]
.LBB0_15:
	s_or_b64 exec, exec, s[6:7]
	v_add_f16_e32 v0, v12, v43
	v_add_f16_e32 v0, v11, v0
	;; [unrolled: 1-line block ×5, first 2 shown]
	v_fma_f16 v0, v0, -0.5, v43
	v_sub_f16_e32 v6, v88, v85
	s_mov_b32 s16, 0xbb9c
	s_movk_i32 s9, 0x3b9c
	v_fma_f16 v90, v6, s16, v0
	v_sub_f16_e32 v91, v87, v86
	s_mov_b32 s15, 0xb8b4
	v_sub_f16_e32 v92, v12, v11
	v_sub_f16_e32 v93, v15, v10
	v_fma_f16 v0, v6, s9, v0
	s_movk_i32 s8, 0x38b4
	v_fma_f16 v90, v91, s15, v90
	v_add_f16_e32 v92, v93, v92
	s_movk_i32 s14, 0x34f2
	v_fma_f16 v0, v91, s8, v0
	v_fma_f16 v93, v92, s14, v90
	;; [unrolled: 1-line block ×3, first 2 shown]
	v_add_f16_e32 v0, v15, v12
	v_fma_f16 v0, v0, -0.5, v43
	v_fma_f16 v43, v91, s9, v0
	v_sub_f16_e32 v90, v11, v12
	v_sub_f16_e32 v94, v10, v15
	v_fma_f16 v0, v91, s16, v0
	v_add_f16_e32 v90, v94, v90
	v_fma_f16 v0, v6, s8, v0
	v_fma_f16 v43, v6, s15, v43
	;; [unrolled: 1-line block ×3, first 2 shown]
	v_add_f16_e32 v0, v38, v39
	v_add_f16_e32 v0, v37, v0
	;; [unrolled: 1-line block ×5, first 2 shown]
	v_fma_f16 v0, v0, -0.5, v39
	v_sub_f16_e32 v95, v83, v80
	v_fma_f16 v94, v90, s14, v43
	v_fma_f16 v43, v95, s16, v0
	v_sub_f16_e32 v96, v82, v81
	v_sub_f16_e32 v90, v38, v37
	;; [unrolled: 1-line block ×3, first 2 shown]
	v_fma_f16 v0, v95, s9, v0
	v_fma_f16 v43, v96, s15, v43
	v_add_f16_e32 v90, v97, v90
	v_fma_f16 v0, v96, s8, v0
	v_fma_f16 v43, v90, s14, v43
	;; [unrolled: 1-line block ×3, first 2 shown]
	v_add_f16_e32 v90, v51, v38
	v_fma_f16 v39, v90, -0.5, v39
	v_fma_f16 v90, v96, s9, v39
	v_fma_f16 v39, v96, s16, v39
	;; [unrolled: 1-line block ×4, first 2 shown]
	v_add_f16_e32 v95, v81, v82
	v_sub_f16_e32 v98, v36, v51
	v_fma_f16 v95, v95, -0.5, v84
	v_sub_f16_e32 v51, v38, v51
	v_sub_f16_e32 v97, v37, v38
	v_fma_f16 v38, v51, s9, v95
	v_sub_f16_e32 v96, v37, v36
	v_fma_f16 v36, v96, s8, v38
	v_sub_f16_e32 v37, v83, v82
	v_sub_f16_e32 v38, v80, v81
	v_add_f16_e32 v38, v38, v37
	v_fma_f16 v37, v38, s14, v36
	v_fma_f16 v36, v51, s16, v95
	v_fma_f16 v36, v96, s15, v36
	v_fma_f16 v36, v38, s14, v36
	v_add_f16_e32 v38, v80, v83
	v_add_f16_e32 v97, v98, v97
	v_fma_f16 v95, v38, -0.5, v84
	v_fma_f16 v90, v97, s14, v90
	v_fma_f16 v39, v97, s14, v39
	;; [unrolled: 1-line block ×3, first 2 shown]
	v_sub_f16_e32 v97, v82, v83
	v_sub_f16_e32 v98, v81, v80
	v_fma_f16 v95, v96, s9, v95
	v_fma_f16 v38, v51, s8, v38
	v_add_f16_e32 v97, v98, v97
	v_fma_f16 v51, v51, s15, v95
	v_mul_f16_e32 v98, 0xb8b4, v36
	s_mov_b32 s19, 0xba79
	v_fma_f16 v38, v97, s14, v38
	v_fma_f16 v51, v97, s14, v51
	v_mul_f16_e32 v95, 0xb8b4, v37
	s_movk_i32 s17, 0x3a79
	v_fma_f16 v98, v0, s19, v98
	v_fma_f16 v95, v43, s17, v95
	v_mul_f16_e32 v96, 0xbb9c, v38
	v_mul_f16_e32 v97, 0xbb9c, v51
	s_mov_b32 s18, 0xb4f2
	v_add_f16_e32 v108, v92, v98
	v_sub_f16_e32 v111, v92, v98
	v_add_f16_e32 v92, v18, v13
	v_add_f16_e32 v105, v93, v95
	v_fma_f16 v96, v90, s14, v96
	v_fma_f16 v97, v39, s18, v97
	v_sub_f16_e32 v109, v93, v95
	v_fma_f16 v92, v92, -0.5, v46
	v_sub_f16_e32 v93, v78, v75
	v_add_f16_e32 v106, v94, v96
	v_add_f16_e32 v107, v6, v97
	v_sub_f16_e32 v110, v94, v96
	v_sub_f16_e32 v6, v6, v97
	v_fma_f16 v94, v93, s16, v92
	v_sub_f16_e32 v95, v77, v76
	v_sub_f16_e32 v96, v14, v13
	;; [unrolled: 1-line block ×3, first 2 shown]
	v_fma_f16 v92, v93, s9, v92
	v_fma_f16 v94, v95, s15, v94
	v_add_f16_e32 v96, v97, v96
	v_fma_f16 v92, v95, s8, v92
	v_fma_f16 v94, v96, s14, v94
	;; [unrolled: 1-line block ×3, first 2 shown]
	v_add_f16_e32 v96, v17, v14
	v_add_f16_e32 v104, v91, v5
	v_sub_f16_e32 v5, v5, v91
	v_add_f16_e32 v91, v14, v46
	v_fma_f16 v46, v96, -0.5, v46
	v_fma_f16 v96, v95, s9, v46
	v_sub_f16_e32 v97, v13, v14
	v_sub_f16_e32 v98, v18, v17
	v_fma_f16 v46, v95, s16, v46
	v_add_f16_e32 v97, v98, v97
	v_fma_f16 v46, v93, s8, v46
	v_fma_f16 v96, v93, s15, v96
	;; [unrolled: 1-line block ×3, first 2 shown]
	v_add_f16_e32 v46, v41, v42
	v_add_f16_e32 v46, v40, v46
	;; [unrolled: 1-line block ×5, first 2 shown]
	v_fma_f16 v96, v97, s14, v96
	v_fma_f16 v46, v46, -0.5, v42
	v_sub_f16_e32 v97, v73, v70
	v_fma_f16 v98, v97, s16, v46
	v_sub_f16_e32 v100, v72, v71
	v_sub_f16_e32 v99, v41, v40
	;; [unrolled: 1-line block ×3, first 2 shown]
	v_fma_f16 v46, v97, s9, v46
	v_fma_f16 v98, v100, s15, v98
	v_add_f16_e32 v99, v101, v99
	v_fma_f16 v46, v100, s8, v46
	v_fma_f16 v98, v99, s14, v98
	v_fma_f16 v46, v99, s14, v46
	v_add_f16_e32 v99, v57, v41
	v_fma_f16 v42, v99, -0.5, v42
	v_fma_f16 v99, v100, s9, v42
	v_fma_f16 v42, v100, s16, v42
	;; [unrolled: 1-line block ×4, first 2 shown]
	v_add_f16_e32 v97, v71, v72
	v_sub_f16_e32 v102, v58, v57
	v_fma_f16 v97, v97, -0.5, v74
	v_sub_f16_e32 v57, v41, v57
	v_sub_f16_e32 v101, v40, v41
	v_fma_f16 v41, v57, s9, v97
	v_sub_f16_e32 v100, v40, v58
	v_fma_f16 v40, v100, s8, v41
	v_sub_f16_e32 v41, v73, v72
	v_sub_f16_e32 v58, v70, v71
	v_add_f16_e32 v58, v58, v41
	v_fma_f16 v41, v58, s14, v40
	v_fma_f16 v40, v57, s16, v97
	;; [unrolled: 1-line block ×4, first 2 shown]
	v_add_f16_e32 v58, v70, v73
	v_add_f16_e32 v101, v102, v101
	v_fma_f16 v97, v58, -0.5, v74
	v_add_f16_e32 v91, v13, v91
	v_fma_f16 v99, v101, s14, v99
	v_fma_f16 v42, v101, s14, v42
	;; [unrolled: 1-line block ×3, first 2 shown]
	v_sub_f16_e32 v101, v72, v73
	v_sub_f16_e32 v102, v71, v70
	v_fma_f16 v97, v100, s9, v97
	v_add_f16_e32 v91, v18, v91
	v_fma_f16 v58, v57, s8, v58
	v_add_f16_e32 v101, v102, v101
	;; [unrolled: 2-line block ×3, first 2 shown]
	v_fma_f16 v58, v101, s14, v58
	v_fma_f16 v100, v101, s14, v57
	v_mul_f16_e32 v102, 0xb8b4, v40
	v_add_f16_e32 v112, v95, v91
	v_mul_f16_e32 v57, 0xb8b4, v41
	v_mul_f16_e32 v97, 0xbb9c, v58
	;; [unrolled: 1-line block ×3, first 2 shown]
	v_fma_f16 v102, v46, s19, v102
	v_sub_f16_e32 v117, v91, v95
	v_add_f16_e32 v91, v20, v21
	v_fma_f16 v57, v98, s17, v57
	v_fma_f16 v97, v99, s14, v97
	;; [unrolled: 1-line block ×3, first 2 shown]
	v_add_f16_e32 v116, v92, v102
	v_sub_f16_e32 v121, v92, v102
	v_fma_f16 v91, v91, -0.5, v47
	v_sub_f16_e32 v92, v68, v65
	v_add_f16_e32 v113, v94, v57
	v_add_f16_e32 v114, v96, v97
	;; [unrolled: 1-line block ×3, first 2 shown]
	v_sub_f16_e32 v118, v94, v57
	v_sub_f16_e32 v119, v96, v97
	;; [unrolled: 1-line block ×3, first 2 shown]
	v_fma_f16 v93, v92, s16, v91
	v_sub_f16_e32 v94, v67, v66
	v_sub_f16_e32 v95, v16, v21
	;; [unrolled: 1-line block ×3, first 2 shown]
	v_fma_f16 v91, v92, s9, v91
	v_fma_f16 v93, v94, s15, v93
	v_add_f16_e32 v95, v96, v95
	v_fma_f16 v91, v94, s8, v91
	v_fma_f16 v93, v95, s14, v93
	;; [unrolled: 1-line block ×3, first 2 shown]
	v_add_f16_e32 v95, v19, v16
	v_add_f16_e32 v57, v16, v47
	v_fma_f16 v47, v95, -0.5, v47
	v_fma_f16 v95, v94, s9, v47
	v_sub_f16_e32 v96, v21, v16
	v_sub_f16_e32 v97, v20, v19
	v_fma_f16 v47, v94, s16, v47
	v_add_f16_e32 v96, v97, v96
	v_fma_f16 v47, v92, s8, v47
	v_fma_f16 v95, v92, s15, v95
	;; [unrolled: 1-line block ×3, first 2 shown]
	v_add_f16_e32 v47, v44, v45
	v_add_f16_e32 v47, v50, v47
	;; [unrolled: 1-line block ×5, first 2 shown]
	v_fma_f16 v95, v96, s14, v95
	v_fma_f16 v47, v47, -0.5, v45
	v_sub_f16_e32 v96, v62, v59
	v_fma_f16 v97, v96, s16, v47
	v_sub_f16_e32 v103, v61, v60
	v_sub_f16_e32 v101, v44, v50
	v_sub_f16_e32 v102, v49, v48
	v_fma_f16 v97, v103, s15, v97
	v_add_f16_e32 v102, v102, v101
	v_fma_f16 v101, v102, s14, v97
	v_fma_f16 v47, v96, s9, v47
	v_add_f16_e32 v97, v49, v44
	v_fma_f16 v47, v103, s8, v47
	v_fma_f16 v45, v97, -0.5, v45
	v_fma_f16 v47, v102, s14, v47
	v_fma_f16 v97, v103, s9, v45
	v_sub_f16_e32 v102, v50, v44
	v_sub_f16_e32 v122, v48, v49
	v_fma_f16 v45, v103, s16, v45
	v_fma_f16 v97, v96, s15, v97
	v_add_f16_e32 v122, v122, v102
	v_fma_f16 v45, v96, s8, v45
	v_add_f16_e32 v96, v60, v61
	v_fma_f16 v102, v122, s14, v97
	v_fma_f16 v96, v96, -0.5, v63
	v_sub_f16_e32 v97, v44, v49
	v_fma_f16 v44, v97, s9, v96
	v_sub_f16_e32 v50, v50, v48
	v_sub_f16_e32 v48, v62, v61
	;; [unrolled: 1-line block ×3, first 2 shown]
	v_fma_f16 v44, v50, s8, v44
	v_add_f16_e32 v49, v49, v48
	v_fma_f16 v48, v49, s14, v44
	v_fma_f16 v44, v97, s16, v96
	;; [unrolled: 1-line block ×4, first 2 shown]
	v_add_f16_e32 v49, v59, v62
	v_fma_f16 v96, v49, -0.5, v63
	v_fma_f16 v45, v122, s14, v45
	v_fma_f16 v49, v50, s16, v96
	v_sub_f16_e32 v103, v61, v62
	v_sub_f16_e32 v122, v60, v59
	v_fma_f16 v50, v50, s9, v96
	v_add_f16_e32 v57, v21, v57
	v_add_f16_e32 v103, v122, v103
	v_fma_f16 v50, v97, s15, v50
	v_add_f16_e32 v57, v20, v57
	v_fma_f16 v49, v97, s8, v49
	v_fma_f16 v50, v103, s14, v50
	v_add_f16_e32 v57, v19, v57
	v_fma_f16 v49, v103, s14, v49
	v_mul_f16_e32 v103, 0xbb9c, v50
	v_add_f16_e32 v122, v94, v57
	v_mul_f16_e32 v96, 0xb8b4, v48
	v_mul_f16_e32 v97, 0xbb9c, v49
	v_fma_f16 v103, v45, s18, v103
	v_mul_f16_e32 v126, 0xb8b4, v44
	v_sub_f16_e32 v128, v57, v94
	v_add_f16_e32 v57, v56, v54
	v_fma_f16 v96, v101, s17, v96
	v_fma_f16 v97, v102, s14, v97
	v_add_f16_e32 v125, v92, v103
	v_fma_f16 v126, v47, s19, v126
	v_sub_f16_e32 v131, v92, v103
	v_fma_f16 v57, v57, -0.5, v52
	v_sub_f16_e32 v92, v26, v29
	v_add_f16_e32 v123, v93, v96
	v_add_f16_e32 v124, v95, v97
	;; [unrolled: 1-line block ×3, first 2 shown]
	v_sub_f16_e32 v129, v93, v96
	v_sub_f16_e32 v130, v95, v97
	;; [unrolled: 1-line block ×3, first 2 shown]
	v_fma_f16 v91, v92, s16, v57
	v_sub_f16_e32 v94, v27, v28
	v_sub_f16_e32 v93, v53, v54
	;; [unrolled: 1-line block ×3, first 2 shown]
	v_fma_f16 v57, v92, s9, v57
	v_fma_f16 v91, v94, s15, v91
	v_add_f16_e32 v93, v95, v93
	v_fma_f16 v57, v94, s8, v57
	v_fma_f16 v91, v93, s14, v91
	;; [unrolled: 1-line block ×3, first 2 shown]
	v_add_f16_e32 v93, v64, v53
	v_fma_f16 v95, v93, -0.5, v52
	v_fma_f16 v93, v94, s9, v95
	v_fma_f16 v94, v94, s16, v95
	;; [unrolled: 1-line block ×3, first 2 shown]
	v_sub_f16_e32 v96, v54, v53
	v_sub_f16_e32 v97, v56, v64
	v_fma_f16 v92, v92, s8, v94
	v_add_f16_e32 v94, v28, v27
	v_add_f16_e32 v96, v97, v96
	v_fma_f16 v94, v94, -0.5, v25
	v_sub_f16_e32 v97, v53, v64
	v_fma_f16 v93, v96, s14, v93
	v_fma_f16 v92, v96, s14, v92
	;; [unrolled: 1-line block ×3, first 2 shown]
	v_sub_f16_e32 v103, v54, v56
	v_sub_f16_e32 v96, v26, v27
	;; [unrolled: 1-line block ×3, first 2 shown]
	v_fma_f16 v94, v97, s16, v94
	v_fma_f16 v95, v103, s8, v95
	v_add_f16_e32 v96, v132, v96
	v_fma_f16 v94, v103, s15, v94
	v_fma_f16 v95, v96, s14, v95
	;; [unrolled: 1-line block ×3, first 2 shown]
	v_add_f16_e32 v96, v29, v26
	v_fma_f16 v132, v96, -0.5, v25
	v_sub_f16_e32 v96, v27, v26
	v_sub_f16_e32 v133, v28, v29
	v_add_f16_e32 v133, v133, v96
	v_fma_f16 v96, v103, s16, v132
	v_fma_f16 v103, v103, s9, v132
	;; [unrolled: 1-line block ×4, first 2 shown]
	v_mul_u32_u24_e32 v103, 10, v7
	v_lshl_add_u32 v103, v103, 1, 0
	v_pack_b32_f16 v106, v106, v107
	v_pack_b32_f16 v104, v104, v105
	ds_write2_b32 v103, v104, v106 offset1:1
	v_pack_b32_f16 v104, v109, v110
	v_pack_b32_f16 v5, v108, v5
	ds_write2_b32 v103, v5, v104 offset0:2 offset1:3
	v_pack_b32_f16 v5, v6, v111
	ds_write_b32 v103, v5 offset:16
	v_mul_i32_i24_e32 v5, 10, v8
	v_lshl_add_u32 v5, v5, 1, 0
	v_pack_b32_f16 v6, v114, v115
	v_pack_b32_f16 v104, v112, v113
	ds_write2_b32 v5, v104, v6 offset1:1
	v_pack_b32_f16 v6, v118, v119
	v_pack_b32_f16 v104, v116, v117
	ds_write2_b32 v5, v104, v6 offset0:2 offset1:3
	v_pack_b32_f16 v6, v120, v121
	ds_write_b32 v5, v6 offset:16
	v_mul_i32_i24_e32 v6, 10, v9
	v_lshl_add_u32 v6, v6, 1, 0
	v_pack_b32_f16 v104, v124, v125
	v_pack_b32_f16 v105, v122, v123
	ds_write2_b32 v6, v105, v104 offset1:1
	v_pack_b32_f16 v104, v129, v130
	v_pack_b32_f16 v105, v127, v128
	v_fma_f16 v96, v133, s14, v96
	v_fma_f16 v97, v133, s14, v97
	ds_write2_b32 v6, v105, v104 offset0:2 offset1:3
	v_pack_b32_f16 v104, v131, v126
	v_cmp_gt_u32_e64 s[0:1], 36, v7
	ds_write_b32 v6, v104 offset:16
	s_and_saveexec_b64 s[6:7], s[0:1]
	s_cbranch_execz .LBB0_17
; %bb.16:
	v_sub_f16_e32 v104, v23, v22
	v_sub_f16_e32 v105, v35, v24
	;; [unrolled: 1-line block ×4, first 2 shown]
	v_add_f16_e32 v104, v105, v104
	v_add_f16_e32 v105, v24, v22
	;; [unrolled: 1-line block ×4, first 2 shown]
	v_fma_f16 v105, v105, -0.5, v55
	v_sub_f16_e32 v106, v30, v34
	v_sub_f16_e32 v108, v32, v33
	v_fma_f16 v112, v112, -0.5, v55
	v_fma_f16 v107, v106, s9, v105
	v_fma_f16 v113, v108, s16, v112
	;; [unrolled: 1-line block ×4, first 2 shown]
	v_add_f16_e32 v55, v23, v55
	v_add_f16_e32 v52, v53, v52
	v_fma_f16 v107, v108, s8, v107
	v_fma_f16 v113, v106, s8, v113
	;; [unrolled: 1-line block ×4, first 2 shown]
	v_add_f16_e32 v55, v22, v55
	v_add_f16_e32 v52, v54, v52
	v_fma_f16 v107, v104, s14, v107
	v_fma_f16 v113, v111, s14, v113
	v_mul_f16_e32 v114, 0xbb9c, v97
	v_fma_f16 v111, v111, s14, v112
	v_mul_f16_e32 v112, 0xbb9c, v96
	;; [unrolled: 2-line block ×3, first 2 shown]
	v_add_f16_e32 v55, v24, v55
	v_add_f16_e32 v52, v56, v52
	v_mul_f16_e32 v109, 0xb8b4, v94
	v_fma_f16 v114, v92, s18, v114
	v_fma_f16 v112, v93, s14, v112
	;; [unrolled: 1-line block ×3, first 2 shown]
	v_add_f16_e32 v55, v35, v55
	v_add_f16_e32 v52, v64, v52
	v_fma_f16 v109, v57, s19, v109
	v_sub_f16_e32 v106, v104, v105
	v_sub_f16_e32 v53, v55, v52
	v_add_f16_e32 v56, v113, v114
	v_add_f16_e32 v64, v111, v112
	;; [unrolled: 1-line block ×4, first 2 shown]
	v_sub_f16_e32 v116, v111, v112
	v_add_f16_e32 v54, v107, v109
	v_add_u32_e32 v55, 0xe10, v103
	v_pack_b32_f16 v56, v64, v56
	v_pack_b32_f16 v52, v52, v104
	v_sub_f16_e32 v110, v107, v109
	v_sub_f16_e32 v115, v113, v114
	ds_write2_b32 v55, v52, v56 offset1:1
	v_add_u32_e32 v52, 0xe18, v103
	v_pack_b32_f16 v55, v106, v116
	v_pack_b32_f16 v53, v54, v53
	ds_write2_b32 v52, v53, v55 offset1:1
	v_pack_b32_f16 v52, v115, v110
	ds_write_b32 v103, v52 offset:3616
.LBB0_17:
	s_or_b64 exec, exec, s[6:7]
	v_add_f16_e32 v53, v86, v87
	v_fma_f16 v53, v53, -0.5, v89
	v_sub_f16_e32 v12, v12, v15
	v_fma_f16 v15, v12, s9, v53
	v_sub_f16_e32 v10, v11, v10
	v_fma_f16 v11, v10, s8, v15
	v_sub_f16_e32 v15, v88, v87
	v_sub_f16_e32 v54, v85, v86
	v_fma_f16 v53, v12, s16, v53
	v_add_f16_e32 v15, v54, v15
	v_fma_f16 v53, v10, s15, v53
	v_fma_f16 v11, v15, s14, v11
	;; [unrolled: 1-line block ×3, first 2 shown]
	v_add_f16_e32 v53, v85, v88
	v_fma_f16 v53, v53, -0.5, v89
	v_fma_f16 v54, v10, s16, v53
	v_fma_f16 v10, v10, s9, v53
	v_add_f16_e32 v52, v88, v89
	v_fma_f16 v54, v12, s8, v54
	v_fma_f16 v10, v12, s15, v10
	v_add_f16_e32 v12, v83, v84
	v_add_f16_e32 v52, v87, v52
	;; [unrolled: 1-line block ×3, first 2 shown]
	v_mul_f16_e32 v43, 0x38b4, v43
	v_add_f16_e32 v52, v86, v52
	v_add_f16_e32 v12, v81, v12
	v_fma_f16 v37, v37, s17, v43
	v_add_f16_e32 v52, v85, v52
	v_sub_f16_e32 v56, v86, v85
	v_add_f16_e32 v12, v80, v12
	v_add_f16_e32 v81, v11, v37
	v_mul_f16_e32 v36, 0x3a79, v36
	v_sub_f16_e32 v86, v11, v37
	v_add_f16_e32 v11, v76, v77
	v_add_f16_e32 v80, v12, v52
	v_fma_f16 v0, v0, s8, -v36
	v_sub_f16_e32 v85, v52, v12
	v_fma_f16 v11, v11, -0.5, v79
	v_sub_f16_e32 v12, v14, v17
	v_sub_f16_e32 v55, v87, v88
	v_add_f16_e32 v84, v15, v0
	v_sub_f16_e32 v88, v15, v0
	v_fma_f16 v14, v12, s9, v11
	v_sub_f16_e32 v13, v13, v18
	v_sub_f16_e32 v15, v78, v77
	v_sub_f16_e32 v17, v75, v76
	v_fma_f16 v11, v12, s16, v11
	v_fma_f16 v14, v13, s8, v14
	v_add_f16_e32 v15, v17, v15
	v_fma_f16 v11, v13, s15, v11
	v_fma_f16 v14, v15, s14, v14
	;; [unrolled: 1-line block ×3, first 2 shown]
	v_add_f16_e32 v15, v75, v78
	v_fma_f16 v15, v15, -0.5, v79
	v_fma_f16 v17, v13, s16, v15
	v_sub_f16_e32 v18, v77, v78
	v_sub_f16_e32 v36, v76, v75
	v_fma_f16 v13, v13, s9, v15
	v_mul_f16_e32 v37, 0x3a79, v40
	v_add_f16_e32 v0, v78, v79
	v_fma_f16 v17, v12, s8, v17
	v_add_f16_e32 v18, v36, v18
	v_fma_f16 v12, v12, s15, v13
	v_mul_f16_e32 v36, 0x34f2, v100
	v_fma_f16 v37, v46, s8, -v37
	v_add_f16_e32 v0, v77, v0
	v_fma_f16 v17, v18, s14, v17
	v_fma_f16 v12, v18, s14, v12
	v_add_f16_e32 v13, v73, v74
	v_mul_f16_e32 v15, 0x38b4, v98
	v_mul_f16_e32 v18, 0x3b9c, v99
	v_fma_f16 v36, v42, s9, -v36
	v_add_f16_e32 v74, v11, v37
	v_sub_f16_e32 v77, v11, v37
	v_add_f16_e32 v11, v66, v67
	v_add_f16_e32 v0, v76, v0
	;; [unrolled: 1-line block ×3, first 2 shown]
	v_fma_f16 v15, v41, s17, v15
	v_fma_f16 v18, v58, s14, v18
	v_add_f16_e32 v73, v12, v36
	v_sub_f16_e32 v76, v12, v36
	v_fma_f16 v11, v11, -0.5, v69
	v_sub_f16_e32 v12, v16, v19
	v_add_f16_e32 v0, v75, v0
	v_add_f16_e32 v13, v71, v13
	;; [unrolled: 1-line block ×4, first 2 shown]
	v_sub_f16_e32 v75, v14, v15
	v_sub_f16_e32 v17, v17, v18
	v_fma_f16 v14, v12, s9, v11
	v_sub_f16_e32 v15, v21, v20
	v_sub_f16_e32 v16, v68, v67
	;; [unrolled: 1-line block ×3, first 2 shown]
	v_fma_f16 v11, v12, s16, v11
	v_fma_f16 v14, v15, s8, v14
	v_add_f16_e32 v16, v18, v16
	v_fma_f16 v11, v15, s15, v11
	v_fma_f16 v14, v16, s14, v14
	;; [unrolled: 1-line block ×3, first 2 shown]
	v_add_f16_e32 v16, v65, v68
	v_fma_f16 v16, v16, -0.5, v69
	v_add_f16_e32 v13, v70, v13
	v_fma_f16 v18, v15, s16, v16
	v_fma_f16 v15, v15, s9, v16
	v_add_f16_e32 v70, v13, v0
	v_sub_f16_e32 v13, v0, v13
	v_add_f16_e32 v0, v68, v69
	v_fma_f16 v18, v12, s8, v18
	v_fma_f16 v12, v12, s15, v15
	v_add_f16_e32 v15, v62, v63
	v_add_f16_e32 v0, v67, v0
	v_sub_f16_e32 v19, v67, v68
	v_sub_f16_e32 v20, v66, v65
	v_add_f16_e32 v15, v61, v15
	v_mul_f16_e32 v43, 0x3b9c, v90
	v_add_f16_e32 v0, v66, v0
	v_add_f16_e32 v19, v20, v19
	;; [unrolled: 1-line block ×3, first 2 shown]
	v_mul_f16_e32 v36, 0x34f2, v50
	v_mul_f16_e32 v37, 0x3a79, v44
	v_add_f16_e32 v55, v56, v55
	v_fma_f16 v38, v38, s14, v43
	v_mul_f16_e32 v43, 0x34f2, v51
	v_add_f16_e32 v0, v65, v0
	v_fma_f16 v18, v19, s14, v18
	v_fma_f16 v12, v19, s14, v12
	v_add_f16_e32 v15, v59, v15
	v_mul_f16_e32 v19, 0x38b4, v101
	v_mul_f16_e32 v20, 0x3b9c, v102
	v_fma_f16 v36, v45, s9, -v36
	v_fma_f16 v37, v47, s8, -v37
	s_movk_i32 s6, 0xffee
	v_fma_f16 v54, v55, s14, v54
	v_fma_f16 v10, v55, s14, v10
	v_fma_f16 v39, v39, s9, -v43
	v_add_f16_e32 v16, v15, v0
	v_fma_f16 v19, v48, s17, v19
	v_fma_f16 v20, v49, s14, v20
	v_add_f16_e32 v78, v12, v36
	v_add_f16_e32 v79, v11, v37
	v_sub_f16_e32 v89, v0, v15
	v_sub_f16_e32 v99, v12, v36
	;; [unrolled: 1-line block ×3, first 2 shown]
	v_lshl_add_u32 v0, v7, 1, 0
	v_mad_i32_i24 v36, v8, s6, v5
	v_mad_i32_i24 v11, v9, s6, v6
	v_add_f16_e32 v82, v54, v38
	v_add_f16_e32 v83, v10, v39
	v_sub_f16_e32 v87, v54, v38
	v_sub_f16_e32 v10, v10, v39
	v_add_f16_e32 v21, v14, v19
	v_add_f16_e32 v69, v18, v20
	v_sub_f16_e32 v90, v14, v19
	v_sub_f16_e32 v98, v18, v20
	s_waitcnt lgkmcnt(0)
	; wave barrier
	s_waitcnt lgkmcnt(0)
	ds_read_u16 v59, v0 offset:3000
	ds_read_u16 v18, v11
	ds_read_u16 v61, v0 offset:840
	ds_read_u16 v53, v0 offset:960
	;; [unrolled: 1-line block ×6, first 2 shown]
	ds_read_u16 v37, v0
	ds_read_u16 v15, v0 offset:360
	ds_read_u16 v14, v0 offset:480
	;; [unrolled: 1-line block ×25, first 2 shown]
	ds_read_u16 v36, v36
	ds_read_u16 v38, v0 offset:4200
	v_pack_b32_f16 v82, v82, v83
	v_pack_b32_f16 v80, v80, v81
	;; [unrolled: 1-line block ×3, first 2 shown]
	s_waitcnt lgkmcnt(0)
	; wave barrier
	s_waitcnt lgkmcnt(0)
	ds_write2_b32 v103, v80, v82 offset1:1
	v_pack_b32_f16 v80, v86, v87
	v_pack_b32_f16 v81, v84, v85
	ds_write_b32 v103, v10 offset:16
	v_pack_b32_f16 v10, v72, v73
	v_pack_b32_f16 v70, v70, v71
	ds_write2_b32 v103, v81, v80 offset0:2 offset1:3
	ds_write2_b32 v5, v70, v10 offset1:1
	v_pack_b32_f16 v10, v75, v17
	v_pack_b32_f16 v13, v74, v13
	ds_write2_b32 v5, v13, v10 offset0:2 offset1:3
	v_pack_b32_f16 v10, v76, v77
	ds_write_b32 v5, v10 offset:16
	v_pack_b32_f16 v10, v69, v78
	v_pack_b32_f16 v13, v16, v21
	ds_write2_b32 v6, v13, v10 offset1:1
	v_pack_b32_f16 v10, v90, v98
	v_pack_b32_f16 v13, v79, v89
	v_add_u32_e32 v12, 0xb4, v7
	v_mul_i32_i24_e32 v19, 0xffffffee, v8
	v_mul_i32_i24_e32 v20, 0xffffffee, v9
	ds_write2_b32 v6, v13, v10 offset0:2 offset1:3
	v_pack_b32_f16 v10, v99, v100
	ds_write_b32 v6, v10 offset:16
	s_and_saveexec_b64 s[6:7], s[0:1]
	s_cbranch_execz .LBB0_19
; %bb.18:
	v_add_f16_e32 v13, v33, v32
	v_fma_f16 v13, v13, -0.5, v31
	v_sub_f16_e32 v16, v23, v35
	s_movk_i32 s0, 0x3b9c
	s_mov_b32 s9, 0xbb9c
	v_fma_f16 v17, v16, s0, v13
	v_sub_f16_e32 v21, v22, v24
	s_movk_i32 s1, 0x38b4
	v_sub_f16_e32 v22, v30, v32
	v_sub_f16_e32 v23, v34, v33
	v_fma_f16 v13, v16, s9, v13
	s_mov_b32 s14, 0xb8b4
	v_fma_f16 v17, v21, s1, v17
	v_add_f16_e32 v22, v23, v22
	s_movk_i32 s8, 0x34f2
	v_fma_f16 v13, v21, s14, v13
	v_fma_f16 v17, v22, s8, v17
	;; [unrolled: 1-line block ×3, first 2 shown]
	v_add_f16_e32 v22, v34, v30
	v_fma_f16 v22, v22, -0.5, v31
	v_fma_f16 v23, v21, s9, v22
	v_fma_f16 v21, v21, s0, v22
	v_add_f16_e32 v10, v30, v31
	v_fma_f16 v23, v16, s1, v23
	v_sub_f16_e32 v24, v32, v30
	v_sub_f16_e32 v30, v33, v34
	v_fma_f16 v16, v16, s14, v21
	v_add_f16_e32 v21, v26, v25
	v_add_f16_e32 v10, v32, v10
	;; [unrolled: 1-line block ×5, first 2 shown]
	v_fma_f16 v23, v24, s8, v23
	v_fma_f16 v16, v24, s8, v16
	v_add_f16_e32 v21, v28, v21
	v_mul_f16_e32 v24, 0x38b4, v91
	s_movk_i32 s9, 0x3a79
	v_mul_f16_e32 v26, 0x3b9c, v93
	v_mul_f16_e32 v30, 0x3a79, v94
	v_add_f16_e32 v10, v34, v10
	v_add_f16_e32 v21, v29, v21
	v_fma_f16 v24, v95, s9, v24
	v_fma_f16 v26, v96, s8, v26
	v_mul_f16_e32 v28, 0x34f2, v97
	v_fma_f16 v30, v57, s1, -v30
	v_add_f16_e32 v22, v21, v10
	v_add_f16_e32 v25, v17, v24
	;; [unrolled: 1-line block ×3, first 2 shown]
	v_fma_f16 v28, v92, s0, -v28
	v_add_f16_e32 v31, v13, v30
	v_sub_f16_e32 v10, v10, v21
	v_sub_f16_e32 v17, v17, v24
	;; [unrolled: 1-line block ×3, first 2 shown]
	v_mul_u32_u24_e32 v23, 10, v12
	v_add_f16_e32 v29, v16, v28
	v_sub_f16_e32 v16, v16, v28
	v_sub_f16_e32 v13, v13, v30
	v_lshl_add_u32 v23, v23, 1, 0
	v_pack_b32_f16 v17, v17, v21
	v_pack_b32_f16 v10, v31, v10
	;; [unrolled: 1-line block ×4, first 2 shown]
	ds_write2_b32 v23, v10, v17 offset0:2 offset1:3
	v_pack_b32_f16 v10, v16, v13
	ds_write2_b32 v23, v22, v24 offset1:1
	ds_write_b32 v23, v10 offset:16
.LBB0_19:
	s_or_b64 exec, exec, s[6:7]
	s_movk_i32 s0, 0xcd
	v_mul_lo_u16_sdwa v10, v7, s0 dst_sel:DWORD dst_unused:UNUSED_PAD src0_sel:BYTE_0 src1_sel:DWORD
	v_lshrrev_b16_e32 v16, 11, v10
	v_mul_lo_u16_e32 v10, 10, v16
	v_sub_u16_e32 v17, v7, v10
	v_mov_b32_e32 v57, 5
	v_mul_u32_u24_sdwa v10, v17, v57 dst_sel:DWORD dst_unused:UNUSED_PAD src0_sel:BYTE_0 src1_sel:DWORD
	v_lshlrev_b32_e32 v21, 2, v10
	s_waitcnt lgkmcnt(0)
	; wave barrier
	s_waitcnt lgkmcnt(0)
	global_load_dwordx4 v[24:27], v21, s[12:13]
	global_load_dword v78, v21, s[12:13] offset:16
	v_add_u32_e32 v5, v5, v19
	v_mul_lo_u16_sdwa v19, v8, s0 dst_sel:DWORD dst_unused:UNUSED_PAD src0_sel:BYTE_0 src1_sel:DWORD
	v_lshrrev_b16_e32 v19, 11, v19
	v_add_u32_e32 v6, v6, v20
	v_mul_lo_u16_e32 v20, 10, v19
	v_sub_u16_e32 v20, v8, v20
	v_mul_u32_u24_sdwa v21, v20, v57 dst_sel:DWORD dst_unused:UNUSED_PAD src0_sel:BYTE_0 src1_sel:DWORD
	v_lshlrev_b32_e32 v22, 2, v21
	global_load_dwordx4 v[28:31], v22, s[12:13]
	v_mul_lo_u16_sdwa v21, v9, s0 dst_sel:DWORD dst_unused:UNUSED_PAD src0_sel:BYTE_0 src1_sel:DWORD
	v_lshrrev_b16_e32 v21, 11, v21
	v_mul_lo_u16_e32 v32, 10, v21
	ds_read_u16 v77, v0 offset:3000
	ds_read_u16 v79, v0 offset:840
	;; [unrolled: 1-line block ×7, first 2 shown]
	ds_read_u16 v85, v0
	ds_read_u16 v86, v0 offset:360
	ds_read_u16 v87, v0 offset:480
	;; [unrolled: 1-line block ×14, first 2 shown]
	global_load_dword v98, v22, s[12:13] offset:16
	v_sub_u16_e32 v22, v9, v32
	v_mul_u32_u24_sdwa v32, v22, v57 dst_sel:DWORD dst_unused:UNUSED_PAD src0_sel:BYTE_0 src1_sel:DWORD
	v_add_u32_e32 v13, 0xf0, v7
	v_lshlrev_b32_e32 v69, 2, v32
	s_mov_b32 s1, 0xcccd
	global_load_dwordx4 v[32:35], v69, s[12:13]
	ds_read_u16 v99, v0 offset:1560
	ds_read_u16 v100, v0 offset:1680
	;; [unrolled: 1-line block ×11, first 2 shown]
	v_mul_lo_u16_sdwa v70, v12, s0 dst_sel:DWORD dst_unused:UNUSED_PAD src0_sel:BYTE_0 src1_sel:DWORD
	v_mul_u32_u24_sdwa v75, v13, s1 dst_sel:DWORD dst_unused:UNUSED_PAD src0_sel:WORD_0 src1_sel:DWORD
	v_lshrrev_b16_e32 v110, 11, v70
	v_lshrrev_b32_e32 v115, 19, v75
	v_mul_lo_u16_e32 v70, 10, v110
	v_sub_u16_e32 v112, v12, v70
	v_mul_u32_u24_sdwa v57, v112, v57 dst_sel:DWORD dst_unused:UNUSED_PAD src0_sel:BYTE_0 src1_sel:DWORD
	v_add_u32_e32 v10, 0x12c, v7
	v_lshlrev_b32_e32 v57, 2, v57
	ds_read_u16 v109, v6
	global_load_dword v111, v69, s[12:13] offset:16
	s_mov_b32 s0, 0xbaee
	global_load_dwordx4 v[69:72], v57, s[12:13]
	ds_read_u16 v113, v5
	ds_read_u16 v114, v0 offset:4200
	global_load_dword v57, v57, s[12:13] offset:16
	v_mul_u32_u24_e32 v16, 0x78, v16
	s_movk_i32 s6, 0x89
	s_waitcnt vmcnt(7) lgkmcnt(8)
	v_mul_f16_sdwa v116, v74, v25 dst_sel:DWORD dst_unused:UNUSED_PAD src0_sel:DWORD src1_sel:WORD_1
	v_mul_f16_sdwa v117, v68, v25 dst_sel:DWORD dst_unused:UNUSED_PAD src0_sel:DWORD src1_sel:WORD_1
	;; [unrolled: 1-line block ×5, first 2 shown]
	v_fma_f16 v68, v68, v25, v116
	v_fma_f16 v116, v74, v25, -v117
	v_mul_f16_sdwa v25, v64, v26 dst_sel:DWORD dst_unused:UNUSED_PAD src0_sel:DWORD src1_sel:WORD_1
	v_fma_f16 v67, v67, v24, v75
	v_fma_f16 v119, v73, v24, -v76
	v_fma_f16 v117, v64, v26, v118
	v_mul_lo_u16_e32 v24, 10, v115
	v_fma_f16 v64, v89, v26, -v25
	s_waitcnt lgkmcnt(6)
	v_mul_f16_sdwa v25, v105, v27 dst_sel:DWORD dst_unused:UNUSED_PAD src0_sel:DWORD src1_sel:WORD_1
	v_sub_u16_e32 v118, v13, v24
	v_fma_f16 v89, v66, v27, v25
	v_mul_f16_sdwa v25, v66, v27 dst_sel:DWORD dst_unused:UNUSED_PAD src0_sel:DWORD src1_sel:WORD_1
	v_mul_u32_u24_e32 v24, 5, v118
	v_fma_f16 v66, v105, v27, -v25
	s_waitcnt vmcnt(6) lgkmcnt(4)
	v_mul_f16_sdwa v25, v107, v78 dst_sel:DWORD dst_unused:UNUSED_PAD src0_sel:DWORD src1_sel:WORD_1
	v_lshlrev_b32_e32 v24, 2, v24
	v_fma_f16 v105, v65, v78, v25
	v_mul_f16_sdwa v25, v65, v78 dst_sel:DWORD dst_unused:UNUSED_PAD src0_sel:DWORD src1_sel:WORD_1
	global_load_dwordx4 v[73:76], v24, s[12:13]
	v_fma_f16 v65, v107, v78, -v25
	global_load_dword v107, v24, s[12:13] offset:16
	v_mul_u32_u24_sdwa v24, v10, s1 dst_sel:DWORD dst_unused:UNUSED_PAD src0_sel:WORD_0 src1_sel:DWORD
	v_lshrrev_b32_e32 v120, 19, v24
	v_mul_lo_u16_e32 v24, 10, v120
	v_sub_u16_e32 v121, v10, v24
	v_mul_u32_u24_e32 v24, 5, v121
	s_waitcnt vmcnt(7)
	v_mul_f16_sdwa v25, v79, v28 dst_sel:DWORD dst_unused:UNUSED_PAD src0_sel:DWORD src1_sel:WORD_1
	v_lshlrev_b32_e32 v122, 2, v24
	v_fma_f16 v78, v61, v28, v25
	global_load_dwordx4 v[24:27], v122, s[12:13]
	v_mul_f16_sdwa v61, v61, v28 dst_sel:DWORD dst_unused:UNUSED_PAD src0_sel:DWORD src1_sel:WORD_1
	v_fma_f16 v28, v79, v28, -v61
	v_mul_f16_sdwa v61, v99, v29 dst_sel:DWORD dst_unused:UNUSED_PAD src0_sel:DWORD src1_sel:WORD_1
	v_fma_f16 v61, v63, v29, v61
	v_mul_f16_sdwa v63, v63, v29 dst_sel:DWORD dst_unused:UNUSED_PAD src0_sel:DWORD src1_sel:WORD_1
	v_fma_f16 v29, v99, v29, -v63
	v_mul_f16_sdwa v63, v90, v30 dst_sel:DWORD dst_unused:UNUSED_PAD src0_sel:DWORD src1_sel:WORD_1
	v_fma_f16 v63, v62, v30, v63
	v_mul_f16_sdwa v62, v62, v30 dst_sel:DWORD dst_unused:UNUSED_PAD src0_sel:DWORD src1_sel:WORD_1
	v_fma_f16 v30, v90, v30, -v62
	v_mul_f16_sdwa v62, v77, v31 dst_sel:DWORD dst_unused:UNUSED_PAD src0_sel:DWORD src1_sel:WORD_1
	v_fma_f16 v62, v59, v31, v62
	v_mul_f16_sdwa v59, v59, v31 dst_sel:DWORD dst_unused:UNUSED_PAD src0_sel:DWORD src1_sel:WORD_1
	v_fma_f16 v31, v77, v31, -v59
	global_load_dword v77, v122, s[12:13] offset:16
	s_waitcnt vmcnt(7)
	v_mul_f16_sdwa v79, v80, v32 dst_sel:DWORD dst_unused:UNUSED_PAD src0_sel:DWORD src1_sel:WORD_1
	v_fma_f16 v79, v53, v32, v79
	v_mul_f16_sdwa v53, v53, v32 dst_sel:DWORD dst_unused:UNUSED_PAD src0_sel:DWORD src1_sel:WORD_1
	v_fma_f16 v32, v80, v32, -v53
	s_waitcnt vmcnt(5)
	v_mul_f16_sdwa v80, v81, v69 dst_sel:DWORD dst_unused:UNUSED_PAD src0_sel:DWORD src1_sel:WORD_1
	v_fma_f16 v80, v48, v69, v80
	v_mul_f16_sdwa v48, v48, v69 dst_sel:DWORD dst_unused:UNUSED_PAD src0_sel:DWORD src1_sel:WORD_1
	v_fma_f16 v48, v81, v69, -v48
	v_mul_f16_sdwa v53, v100, v33 dst_sel:DWORD dst_unused:UNUSED_PAD src0_sel:DWORD src1_sel:WORD_1
	v_fma_f16 v53, v60, v33, v53
	v_mul_f16_sdwa v60, v60, v33 dst_sel:DWORD dst_unused:UNUSED_PAD src0_sel:DWORD src1_sel:WORD_1
	v_fma_f16 v33, v100, v33, -v60
	v_mul_f16_sdwa v60, v91, v34 dst_sel:DWORD dst_unused:UNUSED_PAD src0_sel:DWORD src1_sel:WORD_1
	v_mul_f16_sdwa v69, v101, v70 dst_sel:DWORD dst_unused:UNUSED_PAD src0_sel:DWORD src1_sel:WORD_1
	v_fma_f16 v60, v56, v34, v60
	v_mul_f16_sdwa v56, v56, v34 dst_sel:DWORD dst_unused:UNUSED_PAD src0_sel:DWORD src1_sel:WORD_1
	v_fma_f16 v69, v54, v70, v69
	v_mul_f16_sdwa v54, v54, v70 dst_sel:DWORD dst_unused:UNUSED_PAD src0_sel:DWORD src1_sel:WORD_1
	v_mul_f16_sdwa v59, v82, v98 dst_sel:DWORD dst_unused:UNUSED_PAD src0_sel:DWORD src1_sel:WORD_1
	v_fma_f16 v34, v91, v34, -v56
	v_mul_f16_sdwa v56, v94, v35 dst_sel:DWORD dst_unused:UNUSED_PAD src0_sel:DWORD src1_sel:WORD_1
	v_fma_f16 v54, v101, v70, -v54
	v_mul_f16_sdwa v70, v92, v71 dst_sel:DWORD dst_unused:UNUSED_PAD src0_sel:DWORD src1_sel:WORD_1
	v_fma_f16 v59, v55, v98, v59
	v_mul_f16_sdwa v55, v55, v98 dst_sel:DWORD dst_unused:UNUSED_PAD src0_sel:DWORD src1_sel:WORD_1
	v_fma_f16 v56, v58, v35, v56
	;; [unrolled: 2-line block ×3, first 2 shown]
	v_mul_f16_sdwa v51, v51, v71 dst_sel:DWORD dst_unused:UNUSED_PAD src0_sel:DWORD src1_sel:WORD_1
	v_fma_f16 v55, v82, v98, -v55
	v_fma_f16 v35, v94, v35, -v58
	v_mul_f16_sdwa v58, v83, v111 dst_sel:DWORD dst_unused:UNUSED_PAD src0_sel:DWORD src1_sel:WORD_1
	v_fma_f16 v51, v92, v71, -v51
	v_mul_f16_sdwa v71, v95, v72 dst_sel:DWORD dst_unused:UNUSED_PAD src0_sel:DWORD src1_sel:WORD_1
	v_add_f16_e32 v82, v68, v89
	v_fma_f16 v58, v50, v111, v58
	v_mul_f16_sdwa v50, v50, v111 dst_sel:DWORD dst_unused:UNUSED_PAD src0_sel:DWORD src1_sel:WORD_1
	v_fma_f16 v71, v52, v72, v71
	v_mul_f16_sdwa v52, v52, v72 dst_sel:DWORD dst_unused:UNUSED_PAD src0_sel:DWORD src1_sel:WORD_1
	s_movk_i32 s1, 0x3aee
	v_fma_f16 v50, v83, v111, -v50
	v_fma_f16 v52, v95, v72, -v52
	s_waitcnt vmcnt(4)
	v_mul_f16_sdwa v72, v84, v57 dst_sel:DWORD dst_unused:UNUSED_PAD src0_sel:DWORD src1_sel:WORD_1
	v_fma_f16 v72, v45, v57, v72
	v_mul_f16_sdwa v45, v45, v57 dst_sel:DWORD dst_unused:UNUSED_PAD src0_sel:DWORD src1_sel:WORD_1
	v_fma_f16 v45, v84, v57, -v45
	s_waitcnt lgkmcnt(0)
	; wave barrier
	s_waitcnt vmcnt(3) lgkmcnt(0)
	v_mul_f16_sdwa v57, v88, v73 dst_sel:DWORD dst_unused:UNUSED_PAD src0_sel:DWORD src1_sel:WORD_1
	v_fma_f16 v57, v46, v73, v57
	v_mul_f16_sdwa v46, v46, v73 dst_sel:DWORD dst_unused:UNUSED_PAD src0_sel:DWORD src1_sel:WORD_1
	v_fma_f16 v46, v88, v73, -v46
	v_mul_f16_sdwa v73, v102, v74 dst_sel:DWORD dst_unused:UNUSED_PAD src0_sel:DWORD src1_sel:WORD_1
	v_fma_f16 v73, v49, v74, v73
	v_mul_f16_sdwa v49, v49, v74 dst_sel:DWORD dst_unused:UNUSED_PAD src0_sel:DWORD src1_sel:WORD_1
	v_fma_f16 v49, v102, v74, -v49
	v_mul_f16_sdwa v74, v93, v75 dst_sel:DWORD dst_unused:UNUSED_PAD src0_sel:DWORD src1_sel:WORD_1
	v_fma_f16 v74, v44, v75, v74
	v_mul_f16_sdwa v44, v44, v75 dst_sel:DWORD dst_unused:UNUSED_PAD src0_sel:DWORD src1_sel:WORD_1
	s_waitcnt vmcnt(1)
	v_mul_f16_sdwa v81, v104, v24 dst_sel:DWORD dst_unused:UNUSED_PAD src0_sel:DWORD src1_sel:WORD_1
	v_fma_f16 v81, v47, v24, v81
	v_mul_f16_sdwa v47, v47, v24 dst_sel:DWORD dst_unused:UNUSED_PAD src0_sel:DWORD src1_sel:WORD_1
	v_fma_f16 v24, v104, v24, -v47
	v_mul_f16_sdwa v47, v103, v25 dst_sel:DWORD dst_unused:UNUSED_PAD src0_sel:DWORD src1_sel:WORD_1
	v_fma_f16 v47, v41, v25, v47
	v_mul_f16_sdwa v41, v41, v25 dst_sel:DWORD dst_unused:UNUSED_PAD src0_sel:DWORD src1_sel:WORD_1
	v_fma_f16 v25, v103, v25, -v41
	;; [unrolled: 4-line block ×4, first 2 shown]
	s_waitcnt vmcnt(0)
	v_mul_f16_sdwa v39, v114, v77 dst_sel:DWORD dst_unused:UNUSED_PAD src0_sel:DWORD src1_sel:WORD_1
	v_fma_f16 v39, v38, v77, v39
	v_mul_f16_sdwa v38, v38, v77 dst_sel:DWORD dst_unused:UNUSED_PAD src0_sel:DWORD src1_sel:WORD_1
	v_fma_f16 v38, v114, v77, -v38
	v_add_f16_e32 v77, v37, v68
	v_fma_f16 v37, v82, -0.5, v37
	v_sub_f16_e32 v82, v116, v66
	v_fma_f16 v83, v82, s0, v37
	v_fma_f16 v37, v82, s1, v37
	v_add_f16_e32 v82, v85, v116
	v_add_f16_e32 v82, v82, v66
	;; [unrolled: 1-line block ×3, first 2 shown]
	v_fma_f16 v66, v66, -0.5, v85
	v_sub_f16_e32 v68, v68, v89
	v_add_f16_e32 v85, v117, v105
	v_fma_f16 v84, v68, s1, v66
	v_fma_f16 v66, v68, s0, v66
	v_add_f16_e32 v68, v67, v117
	v_fma_f16 v67, v85, -0.5, v67
	v_sub_f16_e32 v85, v64, v65
	v_fma_f16 v88, v85, s0, v67
	v_fma_f16 v67, v85, s1, v67
	v_add_f16_e32 v85, v119, v64
	v_add_f16_e32 v64, v64, v65
	;; [unrolled: 1-line block ×3, first 2 shown]
	v_fma_f16 v64, v64, -0.5, v119
	v_sub_f16_e32 v65, v117, v105
	v_add_f16_e32 v77, v77, v89
	v_fma_f16 v89, v65, s1, v64
	v_fma_f16 v64, v65, s0, v64
	v_mul_f16_e32 v90, 0xbaee, v89
	v_mul_f16_e32 v89, 0.5, v89
	v_add_f16_e32 v68, v68, v105
	v_fma_f16 v90, v88, 0.5, v90
	v_mul_f16_e32 v92, 0xbaee, v64
	v_fma_f16 v88, v88, s1, v89
	v_mul_f16_e32 v64, -0.5, v64
	v_add_f16_e32 v65, v77, v68
	v_add_f16_e32 v91, v83, v90
	;; [unrolled: 1-line block ×3, first 2 shown]
	v_fma_f16 v64, v67, s1, v64
	v_sub_f16_e32 v68, v77, v68
	v_sub_f16_e32 v77, v83, v90
	;; [unrolled: 1-line block ×3, first 2 shown]
	v_add_f16_e32 v84, v61, v62
	v_fma_f16 v92, v67, -0.5, v92
	v_add_f16_e32 v67, v66, v64
	v_sub_f16_e32 v64, v66, v64
	v_add_f16_e32 v66, v36, v61
	v_fma_f16 v36, v84, -0.5, v36
	v_sub_f16_e32 v84, v29, v31
	v_add_f16_e32 v94, v82, v85
	v_sub_f16_e32 v82, v82, v85
	v_fma_f16 v85, v84, s0, v36
	v_fma_f16 v36, v84, s1, v36
	v_add_f16_e32 v84, v113, v29
	v_add_f16_e32 v29, v29, v31
	;; [unrolled: 1-line block ×4, first 2 shown]
	v_fma_f16 v29, v29, -0.5, v113
	v_sub_f16_e32 v31, v61, v62
	v_add_f16_e32 v62, v63, v59
	v_fma_f16 v61, v31, s1, v29
	v_fma_f16 v29, v31, s0, v29
	v_add_f16_e32 v31, v78, v63
	v_fma_f16 v62, v62, -0.5, v78
	v_sub_f16_e32 v78, v30, v55
	v_fma_f16 v88, v78, s0, v62
	v_fma_f16 v62, v78, s1, v62
	v_add_f16_e32 v78, v28, v30
	v_add_f16_e32 v30, v30, v55
	v_fma_f16 v28, v30, -0.5, v28
	v_sub_f16_e32 v30, v63, v59
	v_add_f16_e32 v78, v78, v55
	v_fma_f16 v55, v30, s1, v28
	v_add_f16_e32 v31, v31, v59
	v_fma_f16 v28, v30, s0, v28
	v_mul_f16_e32 v59, 0xbaee, v55
	v_mul_f16_e32 v55, 0.5, v55
	v_mul_f16_e32 v90, 0xbaee, v28
	v_fma_f16 v55, v88, s1, v55
	v_mul_f16_e32 v28, -0.5, v28
	v_fma_f16 v59, v88, 0.5, v59
	v_add_f16_e32 v88, v61, v55
	v_fma_f16 v28, v62, s1, v28
	v_sub_f16_e32 v55, v61, v55
	v_add_f16_e32 v61, v53, v56
	v_fma_f16 v90, v62, -0.5, v90
	v_add_f16_e32 v62, v29, v28
	v_sub_f16_e32 v28, v29, v28
	v_add_f16_e32 v29, v18, v53
	v_fma_f16 v18, v61, -0.5, v18
	v_sub_f16_e32 v61, v33, v35
	v_add_f16_e32 v30, v66, v31
	v_add_f16_e32 v95, v84, v78
	v_sub_f16_e32 v31, v66, v31
	v_sub_f16_e32 v66, v84, v78
	v_fma_f16 v78, v61, s0, v18
	v_fma_f16 v18, v61, s1, v18
	v_add_f16_e32 v61, v109, v33
	v_add_f16_e32 v33, v33, v35
	;; [unrolled: 1-line block ×4, first 2 shown]
	v_fma_f16 v33, v33, -0.5, v109
	v_sub_f16_e32 v35, v53, v56
	v_add_f16_e32 v56, v60, v58
	v_fma_f16 v53, v35, s1, v33
	v_fma_f16 v33, v35, s0, v33
	v_add_f16_e32 v35, v79, v60
	v_fma_f16 v56, v56, -0.5, v79
	v_sub_f16_e32 v79, v34, v50
	v_fma_f16 v84, v79, s0, v56
	v_fma_f16 v56, v79, s1, v56
	v_add_f16_e32 v79, v32, v34
	v_add_f16_e32 v34, v34, v50
	v_fma_f16 v32, v34, -0.5, v32
	v_sub_f16_e32 v34, v60, v58
	v_add_f16_e32 v79, v79, v50
	v_fma_f16 v50, v34, s1, v32
	v_add_f16_e32 v35, v35, v58
	v_fma_f16 v32, v34, s0, v32
	v_mul_f16_e32 v58, 0xbaee, v50
	v_mul_f16_e32 v50, 0.5, v50
	v_add_f16_e32 v63, v85, v59
	v_sub_f16_e32 v59, v85, v59
	v_mul_f16_e32 v85, 0xbaee, v32
	v_fma_f16 v50, v84, s1, v50
	v_mul_f16_e32 v32, -0.5, v32
	v_fma_f16 v44, v93, v75, -v44
	v_mul_f16_sdwa v75, v96, v76 dst_sel:DWORD dst_unused:UNUSED_PAD src0_sel:DWORD src1_sel:WORD_1
	v_fma_f16 v58, v84, 0.5, v58
	v_add_f16_e32 v84, v53, v50
	v_fma_f16 v32, v56, s1, v32
	v_sub_f16_e32 v50, v53, v50
	v_add_f16_e32 v53, v69, v71
	v_fma_f16 v75, v43, v76, v75
	v_mul_f16_sdwa v43, v43, v76 dst_sel:DWORD dst_unused:UNUSED_PAD src0_sel:DWORD src1_sel:WORD_1
	v_fma_f16 v85, v56, -0.5, v85
	v_add_f16_e32 v56, v33, v32
	v_sub_f16_e32 v32, v33, v32
	v_add_f16_e32 v33, v15, v69
	v_fma_f16 v15, v53, -0.5, v15
	v_sub_f16_e32 v53, v54, v52
	v_fma_f16 v43, v96, v76, -v43
	v_add_f16_e32 v34, v29, v35
	v_add_f16_e32 v60, v78, v58
	v_add_f16_e32 v96, v61, v79
	v_sub_f16_e32 v29, v29, v35
	v_sub_f16_e32 v35, v78, v58
	v_sub_f16_e32 v58, v61, v79
	v_fma_f16 v61, v53, s0, v15
	v_fma_f16 v15, v53, s1, v15
	v_add_f16_e32 v53, v86, v54
	v_add_f16_e32 v33, v33, v71
	;; [unrolled: 1-line block ×4, first 2 shown]
	v_sub_f16_e32 v54, v69, v71
	v_add_f16_e32 v71, v70, v72
	v_fma_f16 v71, v71, -0.5, v80
	v_sub_f16_e32 v78, v51, v45
	v_fma_f16 v79, v78, s0, v71
	v_fma_f16 v71, v78, s1, v71
	v_add_f16_e32 v78, v48, v51
	v_add_f16_e32 v78, v78, v45
	;; [unrolled: 1-line block ×3, first 2 shown]
	v_fma_f16 v45, v45, -0.5, v48
	v_sub_f16_e32 v48, v70, v72
	v_fma_f16 v52, v52, -0.5, v86
	v_fma_f16 v51, v48, s1, v45
	v_fma_f16 v69, v54, s1, v52
	;; [unrolled: 1-line block ×3, first 2 shown]
	v_add_f16_e32 v54, v80, v70
	v_fma_f16 v45, v48, s0, v45
	v_mul_f16_e32 v70, 0xbaee, v51
	v_add_f16_e32 v54, v54, v72
	v_fma_f16 v70, v79, 0.5, v70
	v_mul_f16_e32 v80, 0xbaee, v45
	v_mul_f16_e32 v45, -0.5, v45
	v_add_f16_e32 v48, v33, v54
	v_add_f16_e32 v72, v61, v70
	v_mul_f16_e32 v51, 0.5, v51
	v_fma_f16 v45, v71, s1, v45
	v_sub_f16_e32 v33, v33, v54
	v_sub_f16_e32 v54, v61, v70
	v_add_f16_e32 v61, v73, v75
	v_fma_f16 v80, v71, -0.5, v80
	v_fma_f16 v51, v79, s1, v51
	v_add_f16_e32 v71, v52, v45
	v_sub_f16_e32 v45, v52, v45
	v_add_f16_e32 v52, v14, v73
	v_fma_f16 v14, v61, -0.5, v14
	v_sub_f16_e32 v61, v49, v43
	v_mul_f16_sdwa v76, v97, v107 dst_sel:DWORD dst_unused:UNUSED_PAD src0_sel:DWORD src1_sel:WORD_1
	v_add_f16_e32 v79, v69, v51
	v_sub_f16_e32 v51, v69, v51
	v_fma_f16 v69, v61, s0, v14
	v_fma_f16 v14, v61, s1, v14
	v_add_f16_e32 v61, v87, v49
	v_fma_f16 v76, v40, v107, v76
	v_mul_f16_sdwa v40, v40, v107 dst_sel:DWORD dst_unused:UNUSED_PAD src0_sel:DWORD src1_sel:WORD_1
	v_add_f16_e32 v61, v61, v43
	v_add_f16_e32 v43, v49, v43
	v_fma_f16 v40, v97, v107, -v40
	v_fma_f16 v43, v43, -0.5, v87
	v_sub_f16_e32 v49, v73, v75
	v_add_f16_e32 v73, v74, v76
	v_fma_f16 v70, v49, s1, v43
	v_fma_f16 v43, v49, s0, v43
	v_add_f16_e32 v49, v57, v74
	v_fma_f16 v57, v73, -0.5, v57
	v_sub_f16_e32 v73, v44, v40
	v_add_f16_e32 v52, v52, v75
	v_fma_f16 v75, v73, s0, v57
	v_fma_f16 v57, v73, s1, v57
	v_add_f16_e32 v73, v46, v44
	v_add_f16_e32 v73, v73, v40
	;; [unrolled: 1-line block ×3, first 2 shown]
	v_fma_f16 v40, v40, -0.5, v46
	v_sub_f16_e32 v44, v74, v76
	v_fma_f16 v46, v44, s1, v40
	v_fma_f16 v40, v44, s0, v40
	v_mul_f16_e32 v74, 0xbaee, v46
	v_add_f16_e32 v86, v53, v78
	v_sub_f16_e32 v53, v53, v78
	v_add_f16_e32 v49, v49, v76
	v_fma_f16 v74, v75, 0.5, v74
	v_mul_f16_e32 v78, 0xbaee, v40
	v_mul_f16_e32 v40, -0.5, v40
	v_add_f16_e32 v44, v52, v49
	v_add_f16_e32 v76, v69, v74
	v_mul_f16_e32 v46, 0.5, v46
	v_fma_f16 v40, v57, s1, v40
	v_sub_f16_e32 v49, v52, v49
	v_sub_f16_e32 v52, v69, v74
	v_add_f16_e32 v69, v47, v42
	v_fma_f16 v78, v57, -0.5, v78
	v_fma_f16 v46, v75, s1, v46
	v_add_f16_e32 v57, v43, v40
	v_sub_f16_e32 v40, v43, v40
	v_add_f16_e32 v43, v11, v47
	v_fma_f16 v11, v69, -0.5, v11
	v_sub_f16_e32 v69, v25, v27
	v_add_f16_e32 v75, v70, v46
	v_sub_f16_e32 v46, v70, v46
	v_fma_f16 v70, v69, s0, v11
	v_fma_f16 v11, v69, s1, v11
	v_add_f16_e32 v69, v23, v25
	v_add_f16_e32 v25, v25, v27
	;; [unrolled: 1-line block ×3, first 2 shown]
	v_fma_f16 v23, v25, -0.5, v23
	v_sub_f16_e32 v25, v47, v42
	v_add_f16_e32 v42, v41, v39
	v_fma_f16 v42, v42, -0.5, v81
	v_sub_f16_e32 v47, v26, v38
	v_add_f16_e32 v87, v61, v73
	v_sub_f16_e32 v61, v61, v73
	v_fma_f16 v73, v47, s0, v42
	v_fma_f16 v42, v47, s1, v42
	v_add_f16_e32 v47, v24, v26
	v_add_f16_e32 v26, v26, v38
	v_fma_f16 v24, v26, -0.5, v24
	v_sub_f16_e32 v26, v41, v39
	v_add_f16_e32 v47, v47, v38
	v_fma_f16 v38, v26, s1, v24
	v_fma_f16 v24, v26, s0, v24
	v_mul_f16_e32 v74, 0xbaee, v24
	v_mul_f16_e32 v24, -0.5, v24
	v_add_f16_e32 v69, v69, v27
	v_fma_f16 v27, v25, s1, v23
	v_fma_f16 v23, v25, s0, v23
	;; [unrolled: 1-line block ×3, first 2 shown]
	v_fma_f16 v74, v42, -0.5, v74
	v_add_f16_e32 v42, v23, v24
	v_sub_f16_e32 v23, v23, v24
	v_mov_b32_e32 v24, 1
	v_lshlrev_b32_sdwa v17, v24, v17 dst_sel:DWORD dst_unused:UNUSED_PAD src0_sel:DWORD src1_sel:BYTE_0
	v_add3_u32 v17, 0, v16, v17
	v_mul_u32_u24_e32 v16, 0x78, v19
	v_lshlrev_b32_sdwa v19, v24, v20 dst_sel:DWORD dst_unused:UNUSED_PAD src0_sel:DWORD src1_sel:BYTE_0
	v_add3_u32 v19, 0, v16, v19
	v_mul_u32_u24_e32 v16, 0x78, v21
	v_lshlrev_b32_sdwa v20, v24, v22 dst_sel:DWORD dst_unused:UNUSED_PAD src0_sel:DWORD src1_sel:BYTE_0
	v_add_f16_e32 v93, v37, v92
	v_sub_f16_e32 v37, v37, v92
	v_add_f16_e32 v92, v36, v90
	v_sub_f16_e32 v36, v36, v90
	;; [unrolled: 2-line block ×3, first 2 shown]
	v_add3_u32 v20, 0, v16, v20
	ds_write_b16 v17, v65
	ds_write_b16 v17, v91 offset:20
	ds_write_b16 v17, v93 offset:40
	ds_write_b16 v17, v68 offset:60
	ds_write_b16 v17, v77 offset:80
	ds_write_b16 v17, v37 offset:100
	ds_write_b16 v19, v30
	ds_write_b16 v19, v63 offset:20
	ds_write_b16 v19, v92 offset:40
	ds_write_b16 v19, v31 offset:60
	ds_write_b16 v19, v59 offset:80
	ds_write_b16 v19, v36 offset:100
	;; [unrolled: 6-line block ×3, first 2 shown]
	v_mul_u32_u24_e32 v16, 0x78, v110
	v_lshlrev_b32_sdwa v18, v24, v112 dst_sel:DWORD dst_unused:UNUSED_PAD src0_sel:DWORD src1_sel:BYTE_0
	v_add_f16_e32 v85, v15, v80
	v_sub_f16_e32 v15, v15, v80
	v_add3_u32 v21, 0, v16, v18
	ds_write_b16 v21, v48
	ds_write_b16 v21, v72 offset:20
	ds_write_b16 v21, v85 offset:40
	;; [unrolled: 1-line block ×5, first 2 shown]
	v_mul_u32_u24_e32 v15, 0x78, v115
	v_lshlrev_b32_e32 v16, 1, v118
	v_add_f16_e32 v80, v14, v78
	v_sub_f16_e32 v14, v14, v78
	v_add_f16_e32 v25, v81, v41
	v_add3_u32 v22, 0, v15, v16
	v_add_f16_e32 v25, v25, v39
	v_mul_f16_e32 v39, 0xbaee, v38
	ds_write_b16 v22, v44
	ds_write_b16 v22, v76 offset:20
	ds_write_b16 v22, v80 offset:40
	;; [unrolled: 1-line block ×5, first 2 shown]
	v_mul_u32_u24_e32 v14, 0x78, v120
	v_lshlrev_b32_e32 v15, 1, v121
	v_add_f16_e32 v26, v43, v25
	v_fma_f16 v39, v73, 0.5, v39
	v_add_f16_e32 v78, v11, v74
	v_sub_f16_e32 v11, v11, v74
	v_add3_u32 v24, 0, v14, v15
	v_add_f16_e32 v41, v70, v39
	v_mul_f16_e32 v38, 0.5, v38
	v_sub_f16_e32 v25, v43, v25
	v_sub_f16_e32 v39, v70, v39
	ds_write_b16 v24, v26
	ds_write_b16 v24, v41 offset:20
	ds_write_b16 v24, v78 offset:40
	;; [unrolled: 1-line block ×5, first 2 shown]
	v_mul_u32_u24_e32 v11, 5, v7
	v_fma_f16 v38, v73, s1, v38
	v_lshlrev_b32_e32 v11, 2, v11
	v_add_f16_e32 v81, v69, v47
	v_add_f16_e32 v73, v27, v38
	v_sub_f16_e32 v43, v69, v47
	v_sub_f16_e32 v27, v27, v38
	s_waitcnt lgkmcnt(0)
	; wave barrier
	s_waitcnt lgkmcnt(0)
	ds_read_u16 v41, v0 offset:3000
	ds_read_u16 v18, v6
	ds_read_u16 v44, v0 offset:840
	ds_read_u16 v47, v0 offset:960
	;; [unrolled: 1-line block ×6, first 2 shown]
	ds_read_u16 v59, v0
	ds_read_u16 v16, v0 offset:360
	ds_read_u16 v15, v0 offset:480
	;; [unrolled: 1-line block ×25, first 2 shown]
	ds_read_u16 v97, v5
	ds_read_u16 v98, v0 offset:4200
	s_waitcnt lgkmcnt(0)
	; wave barrier
	s_waitcnt lgkmcnt(0)
	ds_write_b16 v17, v94
	ds_write_b16 v17, v89 offset:20
	ds_write_b16 v17, v67 offset:40
	ds_write_b16 v17, v82 offset:60
	ds_write_b16 v17, v83 offset:80
	ds_write_b16 v17, v64 offset:100
	ds_write_b16 v19, v95
	ds_write_b16 v19, v88 offset:20
	ds_write_b16 v19, v62 offset:40
	ds_write_b16 v19, v66 offset:60
	ds_write_b16 v19, v55 offset:80
	ds_write_b16 v19, v28 offset:100
	;; [unrolled: 6-line block ×6, first 2 shown]
	s_waitcnt lgkmcnt(0)
	; wave barrier
	s_waitcnt lgkmcnt(0)
	global_load_dwordx4 v[20:23], v11, s[12:13] offset:200
	global_load_dword v40, v11, s[12:13] offset:216
	v_mul_lo_u16_sdwa v17, v9, s6 dst_sel:DWORD dst_unused:UNUSED_PAD src0_sel:BYTE_0 src1_sel:DWORD
	v_lshrrev_b16_e32 v17, 13, v17
	v_mul_lo_u16_e32 v17, 60, v17
	v_sub_u16_e32 v17, v9, v17
	ds_read_u16 v42, v0 offset:3000
	ds_read_u16 v43, v6
	ds_read_u16 v45, v0 offset:840
	ds_read_u16 v46, v0 offset:960
	;; [unrolled: 1-line block ×6, first 2 shown]
	ds_read_u16 v56, v0
	ds_read_u16 v57, v0 offset:360
	ds_read_u16 v58, v0 offset:480
	;; [unrolled: 1-line block ×14, first 2 shown]
	v_and_b32_e32 v17, 0xff, v17
	v_mul_u32_u24_e32 v24, 5, v17
	v_lshlrev_b32_e32 v28, 2, v24
	global_load_dwordx4 v[24:27], v28, s[12:13] offset:200
	ds_read_u16 v81, v0 offset:1560
	ds_read_u16 v82, v0 offset:1680
	;; [unrolled: 1-line block ×11, first 2 shown]
	global_load_dword v96, v28, s[12:13] offset:216
	v_mul_lo_u16_sdwa v28, v12, s6 dst_sel:DWORD dst_unused:UNUSED_PAD src0_sel:BYTE_0 src1_sel:DWORD
	v_lshrrev_b16_e32 v28, 13, v28
	v_mul_lo_u16_e32 v28, 60, v28
	v_sub_u16_e32 v12, v12, v28
	v_and_b32_e32 v12, 0xff, v12
	v_mul_u32_u24_e32 v28, 5, v12
	v_lshlrev_b32_e32 v99, 2, v28
	global_load_dwordx4 v[28:31], v99, s[12:13] offset:200
	s_mov_b32 s6, 0x8889
	ds_read_u16 v100, v5
	ds_read_u16 v101, v0 offset:4200
	global_load_dword v99, v99, s[12:13] offset:216
	s_waitcnt vmcnt(5) lgkmcnt(14)
	v_mul_f16_sdwa v102, v32, v20 dst_sel:DWORD dst_unused:UNUSED_PAD src0_sel:DWORD src1_sel:WORD_1
	v_fma_f16 v102, v33, v20, v102
	v_mul_f16_sdwa v33, v33, v20 dst_sel:DWORD dst_unused:UNUSED_PAD src0_sel:DWORD src1_sel:WORD_1
	v_fma_f16 v103, v32, v20, -v33
	s_waitcnt lgkmcnt(7)
	v_mul_f16_sdwa v32, v35, v21 dst_sel:DWORD dst_unused:UNUSED_PAD src0_sel:DWORD src1_sel:WORD_1
	v_fma_f16 v104, v34, v21, v32
	v_mul_f16_sdwa v32, v34, v21 dst_sel:DWORD dst_unused:UNUSED_PAD src0_sel:DWORD src1_sel:WORD_1
	v_fma_f16 v105, v35, v21, -v32
	v_mul_f16_sdwa v32, v39, v22 dst_sel:DWORD dst_unused:UNUSED_PAD src0_sel:DWORD src1_sel:WORD_1
	v_fma_f16 v106, v36, v22, v32
	v_mul_f16_sdwa v36, v36, v22 dst_sel:DWORD dst_unused:UNUSED_PAD src0_sel:DWORD src1_sel:WORD_1
	v_fma_f16 v108, v39, v22, -v36
	s_waitcnt lgkmcnt(5)
	v_mul_f16_sdwa v36, v88, v23 dst_sel:DWORD dst_unused:UNUSED_PAD src0_sel:DWORD src1_sel:WORD_1
	v_mul_u32_u24_sdwa v32, v13, s6 dst_sel:DWORD dst_unused:UNUSED_PAD src0_sel:WORD_0 src1_sel:DWORD
	v_fma_f16 v109, v37, v23, v36
	v_mul_f16_sdwa v36, v37, v23 dst_sel:DWORD dst_unused:UNUSED_PAD src0_sel:DWORD src1_sel:WORD_1
	v_lshrrev_b32_e32 v32, 21, v32
	v_fma_f16 v88, v88, v23, -v36
	s_waitcnt vmcnt(4) lgkmcnt(3)
	v_mul_f16_sdwa v36, v94, v40 dst_sel:DWORD dst_unused:UNUSED_PAD src0_sel:DWORD src1_sel:WORD_1
	v_mul_lo_u16_e32 v32, 60, v32
	v_fma_f16 v110, v38, v40, v36
	v_mul_f16_sdwa v36, v38, v40 dst_sel:DWORD dst_unused:UNUSED_PAD src0_sel:DWORD src1_sel:WORD_1
	v_sub_u16_e32 v13, v13, v32
	v_fma_f16 v94, v94, v40, -v36
	v_mul_f16_sdwa v36, v45, v20 dst_sel:DWORD dst_unused:UNUSED_PAD src0_sel:DWORD src1_sel:WORD_1
	v_mul_u32_u24_e32 v32, 5, v13
	v_fma_f16 v111, v44, v20, v36
	v_mul_u32_u24_sdwa v36, v10, s6 dst_sel:DWORD dst_unused:UNUSED_PAD src0_sel:WORD_0 src1_sel:DWORD
	v_lshlrev_b32_e32 v107, 2, v32
	global_load_dwordx4 v[32:35], v107, s[12:13] offset:200
	v_lshrrev_b32_e32 v36, 21, v36
	v_mul_lo_u16_e32 v36, 60, v36
	v_sub_u16_e32 v112, v10, v36
	v_mul_u32_u24_e32 v36, 5, v112
	v_mul_f16_sdwa v44, v44, v20 dst_sel:DWORD dst_unused:UNUSED_PAD src0_sel:DWORD src1_sel:WORD_1
	v_lshlrev_b32_e32 v113, 2, v36
	v_fma_f16 v20, v45, v20, -v44
	v_mul_f16_sdwa v44, v81, v21 dst_sel:DWORD dst_unused:UNUSED_PAD src0_sel:DWORD src1_sel:WORD_1
	v_mul_f16_sdwa v45, v77, v21 dst_sel:DWORD dst_unused:UNUSED_PAD src0_sel:DWORD src1_sel:WORD_1
	global_load_dword v107, v107, s[12:13] offset:216
	v_fma_f16 v44, v77, v21, v44
	global_load_dwordx4 v[36:39], v113, s[12:13] offset:200
	v_fma_f16 v21, v81, v21, -v45
	v_mul_f16_sdwa v45, v62, v22 dst_sel:DWORD dst_unused:UNUSED_PAD src0_sel:DWORD src1_sel:WORD_1
	v_fma_f16 v45, v63, v22, v45
	v_mul_f16_sdwa v63, v63, v22 dst_sel:DWORD dst_unused:UNUSED_PAD src0_sel:DWORD src1_sel:WORD_1
	v_fma_f16 v22, v62, v22, -v63
	v_mul_f16_sdwa v62, v42, v23 dst_sel:DWORD dst_unused:UNUSED_PAD src0_sel:DWORD src1_sel:WORD_1
	v_fma_f16 v62, v41, v23, v62
	v_mul_f16_sdwa v41, v41, v23 dst_sel:DWORD dst_unused:UNUSED_PAD src0_sel:DWORD src1_sel:WORD_1
	v_fma_f16 v23, v42, v23, -v41
	global_load_dword v42, v113, s[12:13] offset:216
	v_mul_f16_sdwa v41, v51, v40 dst_sel:DWORD dst_unused:UNUSED_PAD src0_sel:DWORD src1_sel:WORD_1
	v_fma_f16 v41, v49, v40, v41
	v_mul_f16_sdwa v49, v49, v40 dst_sel:DWORD dst_unused:UNUSED_PAD src0_sel:DWORD src1_sel:WORD_1
	v_fma_f16 v40, v51, v40, -v49
	s_waitcnt vmcnt(7)
	v_mul_f16_sdwa v49, v46, v24 dst_sel:DWORD dst_unused:UNUSED_PAD src0_sel:DWORD src1_sel:WORD_1
	v_fma_f16 v49, v47, v24, v49
	v_mul_f16_sdwa v47, v47, v24 dst_sel:DWORD dst_unused:UNUSED_PAD src0_sel:DWORD src1_sel:WORD_1
	v_fma_f16 v24, v46, v24, -v47
	v_mul_f16_sdwa v46, v82, v25 dst_sel:DWORD dst_unused:UNUSED_PAD src0_sel:DWORD src1_sel:WORD_1
	v_mul_f16_sdwa v47, v78, v25 dst_sel:DWORD dst_unused:UNUSED_PAD src0_sel:DWORD src1_sel:WORD_1
	v_fma_f16 v46, v78, v25, v46
	v_fma_f16 v25, v82, v25, -v47
	v_mul_f16_sdwa v47, v64, v26 dst_sel:DWORD dst_unused:UNUSED_PAD src0_sel:DWORD src1_sel:WORD_1
	v_mul_f16_sdwa v51, v65, v26 dst_sel:DWORD dst_unused:UNUSED_PAD src0_sel:DWORD src1_sel:WORD_1
	v_fma_f16 v47, v65, v26, v47
	;; [unrolled: 4-line block ×3, first 2 shown]
	v_fma_f16 v27, v71, v27, -v63
	s_waitcnt vmcnt(6)
	v_mul_f16_sdwa v63, v53, v96 dst_sel:DWORD dst_unused:UNUSED_PAD src0_sel:DWORD src1_sel:WORD_1
	v_fma_f16 v63, v52, v96, v63
	v_mul_f16_sdwa v52, v52, v96 dst_sel:DWORD dst_unused:UNUSED_PAD src0_sel:DWORD src1_sel:WORD_1
	v_fma_f16 v52, v53, v96, -v52
	s_waitcnt vmcnt(5)
	v_mul_f16_sdwa v53, v50, v28 dst_sel:DWORD dst_unused:UNUSED_PAD src0_sel:DWORD src1_sel:WORD_1
	v_fma_f16 v53, v48, v28, v53
	v_mul_f16_sdwa v48, v48, v28 dst_sel:DWORD dst_unused:UNUSED_PAD src0_sel:DWORD src1_sel:WORD_1
	v_fma_f16 v28, v50, v28, -v48
	v_mul_f16_sdwa v48, v83, v29 dst_sel:DWORD dst_unused:UNUSED_PAD src0_sel:DWORD src1_sel:WORD_1
	v_mul_f16_sdwa v50, v80, v29 dst_sel:DWORD dst_unused:UNUSED_PAD src0_sel:DWORD src1_sel:WORD_1
	v_fma_f16 v48, v80, v29, v48
	v_fma_f16 v29, v83, v29, -v50
	v_mul_f16_sdwa v50, v66, v30 dst_sel:DWORD dst_unused:UNUSED_PAD src0_sel:DWORD src1_sel:WORD_1
	v_mul_f16_sdwa v64, v68, v30 dst_sel:DWORD dst_unused:UNUSED_PAD src0_sel:DWORD src1_sel:WORD_1
	v_fma_f16 v50, v68, v30, v50
	;; [unrolled: 4-line block ×3, first 2 shown]
	v_fma_f16 v31, v73, v31, -v65
	s_waitcnt vmcnt(4)
	v_mul_f16_sdwa v65, v55, v99 dst_sel:DWORD dst_unused:UNUSED_PAD src0_sel:DWORD src1_sel:WORD_1
	v_fma_f16 v65, v54, v99, v65
	v_mul_f16_sdwa v54, v54, v99 dst_sel:DWORD dst_unused:UNUSED_PAD src0_sel:DWORD src1_sel:WORD_1
	v_fma_f16 v54, v55, v99, -v54
	v_add_f16_e32 v82, v108, v94
	v_add_f16_e32 v77, v105, v88
	v_fma_f16 v82, v82, -0.5, v103
	v_sub_f16_e32 v83, v106, v110
	v_sub_f16_e32 v80, v108, v94
	s_waitcnt lgkmcnt(0)
	; wave barrier
	s_waitcnt vmcnt(3) lgkmcnt(0)
	v_mul_f16_sdwa v55, v61, v32 dst_sel:DWORD dst_unused:UNUSED_PAD src0_sel:DWORD src1_sel:WORD_1
	v_fma_f16 v55, v60, v32, v55
	v_mul_f16_sdwa v60, v60, v32 dst_sel:DWORD dst_unused:UNUSED_PAD src0_sel:DWORD src1_sel:WORD_1
	v_fma_f16 v32, v61, v32, -v60
	v_mul_f16_sdwa v60, v84, v33 dst_sel:DWORD dst_unused:UNUSED_PAD src0_sel:DWORD src1_sel:WORD_1
	v_mul_f16_sdwa v61, v85, v33 dst_sel:DWORD dst_unused:UNUSED_PAD src0_sel:DWORD src1_sel:WORD_1
	v_fma_f16 v60, v85, v33, v60
	v_fma_f16 v33, v84, v33, -v61
	v_mul_f16_sdwa v61, v67, v34 dst_sel:DWORD dst_unused:UNUSED_PAD src0_sel:DWORD src1_sel:WORD_1
	v_fma_f16 v61, v69, v34, v61
	v_mul_f16_sdwa v66, v69, v34 dst_sel:DWORD dst_unused:UNUSED_PAD src0_sel:DWORD src1_sel:WORD_1
	v_fma_f16 v34, v67, v34, -v66
	s_waitcnt vmcnt(1)
	v_mul_f16_sdwa v69, v87, v36 dst_sel:DWORD dst_unused:UNUSED_PAD src0_sel:DWORD src1_sel:WORD_1
	v_mul_f16_sdwa v70, v91, v36 dst_sel:DWORD dst_unused:UNUSED_PAD src0_sel:DWORD src1_sel:WORD_1
	v_fma_f16 v69, v91, v36, v69
	v_fma_f16 v36, v87, v36, -v70
	v_mul_f16_sdwa v70, v86, v37 dst_sel:DWORD dst_unused:UNUSED_PAD src0_sel:DWORD src1_sel:WORD_1
	v_mul_f16_sdwa v71, v90, v37 dst_sel:DWORD dst_unused:UNUSED_PAD src0_sel:DWORD src1_sel:WORD_1
	v_fma_f16 v70, v90, v37, v70
	v_fma_f16 v37, v86, v37, -v71
	v_mul_f16_sdwa v71, v89, v38 dst_sel:DWORD dst_unused:UNUSED_PAD src0_sel:DWORD src1_sel:WORD_1
	v_mul_f16_sdwa v72, v92, v38 dst_sel:DWORD dst_unused:UNUSED_PAD src0_sel:DWORD src1_sel:WORD_1
	;; [unrolled: 1-line block ×4, first 2 shown]
	v_fma_f16 v71, v92, v38, v71
	v_fma_f16 v38, v89, v38, -v72
	v_mul_f16_sdwa v72, v95, v39 dst_sel:DWORD dst_unused:UNUSED_PAD src0_sel:DWORD src1_sel:WORD_1
	v_mul_f16_sdwa v73, v93, v39 dst_sel:DWORD dst_unused:UNUSED_PAD src0_sel:DWORD src1_sel:WORD_1
	v_fma_f16 v66, v74, v35, v66
	v_fma_f16 v35, v75, v35, -v67
	v_mul_f16_sdwa v68, v76, v107 dst_sel:DWORD dst_unused:UNUSED_PAD src0_sel:DWORD src1_sel:WORD_1
	v_fma_f16 v72, v93, v39, v72
	v_fma_f16 v39, v95, v39, -v73
	s_waitcnt vmcnt(0)
	v_mul_f16_sdwa v73, v101, v42 dst_sel:DWORD dst_unused:UNUSED_PAD src0_sel:DWORD src1_sel:WORD_1
	v_mul_f16_sdwa v74, v98, v42 dst_sel:DWORD dst_unused:UNUSED_PAD src0_sel:DWORD src1_sel:WORD_1
	v_add_f16_e32 v75, v104, v109
	v_mul_f16_sdwa v67, v79, v107 dst_sel:DWORD dst_unused:UNUSED_PAD src0_sel:DWORD src1_sel:WORD_1
	v_fma_f16 v68, v79, v107, -v68
	v_fma_f16 v73, v98, v42, v73
	v_fma_f16 v42, v101, v42, -v74
	v_add_f16_e32 v74, v59, v104
	v_fma_f16 v59, v75, -0.5, v59
	v_sub_f16_e32 v75, v105, v88
	v_add_f16_e32 v79, v106, v110
	v_fma_f16 v67, v76, v107, v67
	v_fma_f16 v76, v75, s0, v59
	;; [unrolled: 1-line block ×3, first 2 shown]
	v_add_f16_e32 v75, v56, v105
	v_fma_f16 v56, v77, -0.5, v56
	v_sub_f16_e32 v77, v104, v109
	v_fma_f16 v79, v79, -0.5, v102
	v_fma_f16 v84, v83, s1, v82
	v_fma_f16 v82, v83, s0, v82
	;; [unrolled: 1-line block ×4, first 2 shown]
	v_add_f16_e32 v77, v102, v106
	v_fma_f16 v81, v80, s0, v79
	v_fma_f16 v79, v80, s1, v79
	v_mul_f16_e32 v85, 0xbaee, v84
	v_mul_f16_e32 v87, 0xbaee, v82
	v_mul_f16_e32 v84, 0.5, v84
	v_mul_f16_e32 v82, -0.5, v82
	v_add_f16_e32 v74, v74, v109
	v_add_f16_e32 v77, v77, v110
	;; [unrolled: 1-line block ×3, first 2 shown]
	v_fma_f16 v85, v81, 0.5, v85
	v_fma_f16 v87, v79, -0.5, v87
	v_fma_f16 v81, v81, s1, v84
	v_fma_f16 v79, v79, s1, v82
	v_add_f16_e32 v75, v75, v88
	v_add_f16_e32 v80, v80, v94
	;; [unrolled: 1-line block ×5, first 2 shown]
	v_sub_f16_e32 v74, v74, v77
	v_sub_f16_e32 v77, v78, v81
	;; [unrolled: 1-line block ×3, first 2 shown]
	v_add_f16_e32 v79, v44, v62
	v_add_f16_e32 v89, v75, v80
	v_sub_f16_e32 v75, v75, v80
	v_fma_f16 v79, v79, -0.5, v97
	v_sub_f16_e32 v80, v21, v23
	v_add_f16_e32 v56, v97, v44
	v_fma_f16 v81, v80, s0, v79
	v_fma_f16 v79, v80, s1, v79
	v_add_f16_e32 v80, v100, v21
	v_add_f16_e32 v56, v56, v62
	;; [unrolled: 1-line block ×4, first 2 shown]
	v_sub_f16_e32 v23, v44, v62
	v_add_f16_e32 v62, v45, v41
	v_add_f16_e32 v86, v76, v85
	v_sub_f16_e32 v76, v76, v85
	v_fma_f16 v62, v62, -0.5, v111
	v_sub_f16_e32 v85, v22, v40
	v_add_f16_e32 v88, v59, v87
	v_sub_f16_e32 v59, v59, v87
	v_fma_f16 v87, v85, s0, v62
	v_fma_f16 v62, v85, s1, v62
	v_add_f16_e32 v85, v20, v22
	v_add_f16_e32 v22, v22, v40
	v_fma_f16 v21, v21, -0.5, v100
	v_fma_f16 v20, v22, -0.5, v20
	v_sub_f16_e32 v22, v45, v41
	v_fma_f16 v44, v23, s1, v21
	v_fma_f16 v21, v23, s0, v21
	v_add_f16_e32 v23, v111, v45
	v_add_f16_e32 v85, v85, v40
	v_fma_f16 v40, v22, s1, v20
	v_add_f16_e32 v23, v23, v41
	v_fma_f16 v20, v22, s0, v20
	v_mul_f16_e32 v41, 0xbaee, v40
	v_mul_f16_e32 v40, 0.5, v40
	v_mul_f16_e32 v90, 0xbaee, v20
	v_fma_f16 v40, v87, s1, v40
	v_mul_f16_e32 v20, -0.5, v20
	v_fma_f16 v41, v87, 0.5, v41
	v_add_f16_e32 v87, v44, v40
	v_fma_f16 v20, v62, s1, v20
	v_sub_f16_e32 v44, v44, v40
	v_add_f16_e32 v40, v46, v51
	v_fma_f16 v90, v62, -0.5, v90
	v_add_f16_e32 v62, v21, v20
	v_sub_f16_e32 v20, v21, v20
	v_add_f16_e32 v21, v18, v46
	v_fma_f16 v18, v40, -0.5, v18
	v_sub_f16_e32 v40, v25, v27
	v_add_f16_e32 v22, v56, v23
	v_add_f16_e32 v91, v79, v90
	;; [unrolled: 1-line block ×3, first 2 shown]
	v_sub_f16_e32 v23, v56, v23
	v_sub_f16_e32 v56, v79, v90
	;; [unrolled: 1-line block ×3, first 2 shown]
	v_fma_f16 v80, v40, s0, v18
	v_fma_f16 v18, v40, s1, v18
	v_add_f16_e32 v40, v43, v25
	v_add_f16_e32 v25, v25, v27
	;; [unrolled: 1-line block ×3, first 2 shown]
	v_fma_f16 v25, v25, -0.5, v43
	v_sub_f16_e32 v27, v46, v51
	v_add_f16_e32 v46, v47, v63
	v_fma_f16 v43, v27, s1, v25
	v_fma_f16 v25, v27, s0, v25
	v_add_f16_e32 v27, v49, v47
	v_fma_f16 v46, v46, -0.5, v49
	v_sub_f16_e32 v49, v26, v52
	v_add_f16_e32 v21, v21, v51
	v_fma_f16 v51, v49, s0, v46
	v_fma_f16 v46, v49, s1, v46
	v_add_f16_e32 v49, v24, v26
	v_add_f16_e32 v26, v26, v52
	v_fma_f16 v24, v26, -0.5, v24
	v_sub_f16_e32 v26, v47, v63
	v_fma_f16 v47, v26, s1, v24
	v_fma_f16 v24, v26, s0, v24
	v_add_f16_e32 v45, v81, v41
	v_sub_f16_e32 v41, v81, v41
	v_add_f16_e32 v49, v49, v52
	v_mul_f16_e32 v52, 0xbaee, v47
	v_mul_f16_e32 v81, 0xbaee, v24
	v_mul_f16_e32 v24, -0.5, v24
	v_add_f16_e32 v27, v27, v63
	v_fma_f16 v52, v51, 0.5, v52
	v_fma_f16 v24, v46, s1, v24
	v_add_f16_e32 v26, v21, v27
	v_add_f16_e32 v63, v80, v52
	v_fma_f16 v81, v46, -0.5, v81
	v_add_f16_e32 v46, v25, v24
	v_sub_f16_e32 v21, v21, v27
	v_sub_f16_e32 v27, v80, v52
	;; [unrolled: 1-line block ×3, first 2 shown]
	v_add_f16_e32 v25, v48, v64
	v_add_f16_e32 v24, v16, v48
	v_fma_f16 v16, v25, -0.5, v16
	v_sub_f16_e32 v25, v29, v31
	v_add_f16_e32 v90, v40, v49
	v_sub_f16_e32 v49, v40, v49
	v_fma_f16 v40, v25, s0, v16
	v_fma_f16 v16, v25, s1, v16
	v_add_f16_e32 v25, v57, v29
	v_mul_f16_e32 v47, 0.5, v47
	v_add_f16_e32 v25, v25, v31
	v_add_f16_e32 v29, v29, v31
	v_sub_f16_e32 v31, v48, v64
	v_add_f16_e32 v48, v50, v65
	v_fma_f16 v47, v51, s1, v47
	v_fma_f16 v29, v29, -0.5, v57
	v_fma_f16 v48, v48, -0.5, v53
	v_sub_f16_e32 v52, v30, v54
	v_add_f16_e32 v51, v43, v47
	v_sub_f16_e32 v47, v43, v47
	v_fma_f16 v43, v31, s1, v29
	v_fma_f16 v29, v31, s0, v29
	v_add_f16_e32 v31, v53, v50
	v_fma_f16 v53, v52, s0, v48
	v_fma_f16 v48, v52, s1, v48
	v_add_f16_e32 v52, v28, v30
	v_add_f16_e32 v30, v30, v54
	v_fma_f16 v28, v30, -0.5, v28
	v_sub_f16_e32 v30, v50, v65
	v_fma_f16 v50, v30, s1, v28
	v_add_f16_e32 v52, v52, v54
	v_fma_f16 v28, v30, s0, v28
	v_mul_f16_e32 v54, 0xbaee, v50
	v_mul_f16_e32 v50, 0.5, v50
	v_add_f16_e32 v24, v24, v64
	v_mul_f16_e32 v64, 0xbaee, v28
	v_fma_f16 v50, v53, s1, v50
	v_mul_f16_e32 v28, -0.5, v28
	v_add_f16_e32 v93, v43, v50
	v_fma_f16 v28, v48, s1, v28
	v_sub_f16_e32 v95, v43, v50
	v_add_f16_e32 v43, v61, v67
	v_fma_f16 v64, v48, -0.5, v64
	v_add_f16_e32 v94, v29, v28
	v_sub_f16_e32 v96, v29, v28
	v_add_f16_e32 v28, v60, v66
	v_fma_f16 v43, v43, -0.5, v55
	v_sub_f16_e32 v48, v34, v68
	v_add_f16_e32 v85, v18, v81
	v_sub_f16_e32 v18, v18, v81
	v_add_f16_e32 v31, v31, v65
	v_add_f16_e32 v65, v16, v64
	;; [unrolled: 1-line block ×3, first 2 shown]
	v_sub_f16_e32 v16, v16, v64
	v_sub_f16_e32 v64, v25, v52
	v_add_f16_e32 v25, v15, v60
	v_fma_f16 v15, v28, -0.5, v15
	v_sub_f16_e32 v28, v33, v35
	v_fma_f16 v50, v48, s0, v43
	v_fma_f16 v43, v48, s1, v43
	v_add_f16_e32 v48, v32, v34
	v_add_f16_e32 v34, v34, v68
	v_fma_f16 v29, v28, s0, v15
	v_fma_f16 v15, v28, s1, v15
	v_add_f16_e32 v28, v58, v33
	v_add_f16_e32 v33, v33, v35
	v_fma_f16 v32, v34, -0.5, v32
	v_sub_f16_e32 v34, v61, v67
	v_fma_f16 v54, v53, 0.5, v54
	v_add_f16_e32 v28, v28, v35
	v_fma_f16 v33, v33, -0.5, v58
	v_sub_f16_e32 v35, v60, v66
	v_fma_f16 v52, v34, s1, v32
	v_fma_f16 v32, v34, s0, v32
	v_add_f16_e32 v30, v24, v31
	v_add_f16_e32 v57, v40, v54
	v_sub_f16_e32 v24, v24, v31
	v_sub_f16_e32 v31, v40, v54
	v_fma_f16 v40, v35, s1, v33
	v_fma_f16 v33, v35, s0, v33
	v_add_f16_e32 v35, v55, v61
	v_mul_f16_e32 v55, 0xbaee, v32
	v_mul_f16_e32 v32, -0.5, v32
	v_fma_f16 v32, v43, s1, v32
	v_add_f16_e32 v25, v25, v66
	v_add_f16_e32 v48, v48, v68
	;; [unrolled: 1-line block ×3, first 2 shown]
	v_sub_f16_e32 v97, v33, v32
	v_add_f16_e32 v32, v70, v72
	v_add_f16_e32 v35, v35, v67
	;; [unrolled: 1-line block ×3, first 2 shown]
	v_sub_f16_e32 v67, v28, v48
	v_add_f16_e32 v28, v14, v70
	v_fma_f16 v14, v32, -0.5, v14
	v_sub_f16_e32 v32, v37, v39
	v_mul_f16_e32 v53, 0xbaee, v52
	v_mul_f16_e32 v52, 0.5, v52
	v_fma_f16 v33, v32, s0, v14
	v_fma_f16 v14, v32, s1, v14
	v_add_f16_e32 v32, v19, v37
	v_add_f16_e32 v34, v25, v35
	v_fma_f16 v53, v50, 0.5, v53
	v_fma_f16 v50, v50, s1, v52
	v_sub_f16_e32 v25, v25, v35
	v_add_f16_e32 v32, v32, v39
	v_add_f16_e32 v35, v37, v39
	;; [unrolled: 1-line block ×4, first 2 shown]
	v_sub_f16_e32 v68, v40, v50
	v_fma_f16 v39, v39, -0.5, v69
	v_sub_f16_e32 v40, v38, v42
	v_fma_f16 v55, v43, -0.5, v55
	v_fma_f16 v43, v40, s0, v39
	v_fma_f16 v39, v40, s1, v39
	v_add_f16_e32 v40, v36, v38
	v_add_f16_e32 v38, v38, v42
	v_fma_f16 v36, v38, -0.5, v36
	v_sub_f16_e32 v38, v71, v73
	v_fma_f16 v19, v35, -0.5, v19
	v_sub_f16_e32 v35, v70, v72
	v_add_f16_e32 v40, v40, v42
	v_fma_f16 v42, v38, s1, v36
	v_fma_f16 v36, v38, s0, v36
	;; [unrolled: 1-line block ×4, first 2 shown]
	v_add_f16_e32 v35, v69, v71
	v_mul_f16_e32 v48, 0xbaee, v42
	v_mul_f16_e32 v52, 0xbaee, v36
	ds_write_b16 v0, v83
	ds_write_b16 v0, v86 offset:120
	ds_write_b16 v0, v88 offset:240
	;; [unrolled: 1-line block ×11, first 2 shown]
	v_lshl_add_u32 v22, v17, 1, 0
	v_add_f16_e32 v58, v15, v55
	v_add_f16_e32 v28, v28, v72
	;; [unrolled: 1-line block ×3, first 2 shown]
	v_fma_f16 v48, v43, 0.5, v48
	v_fma_f16 v52, v39, -0.5, v52
	v_mul_f16_e32 v42, 0.5, v42
	v_mul_f16_e32 v36, -0.5, v36
	ds_write_b16 v22, v26 offset:1440
	ds_write_b16 v22, v63 offset:1560
	;; [unrolled: 1-line block ×6, first 2 shown]
	v_lshl_add_u32 v18, v12, 1, 0
	v_lshl_add_u32 v23, v13, 1, 0
	v_add_f16_e32 v54, v29, v53
	v_sub_f16_e32 v29, v29, v53
	v_sub_f16_e32 v15, v15, v55
	v_add_f16_e32 v38, v28, v35
	v_add_f16_e32 v50, v33, v48
	;; [unrolled: 1-line block ×3, first 2 shown]
	v_fma_f16 v42, v43, s1, v42
	v_fma_f16 v36, v39, s1, v36
	v_sub_f16_e32 v28, v28, v35
	v_sub_f16_e32 v33, v33, v48
	;; [unrolled: 1-line block ×3, first 2 shown]
	ds_write_b16 v18, v30 offset:2160
	ds_write_b16 v18, v57 offset:2280
	;; [unrolled: 1-line block ×12, first 2 shown]
	v_lshl_add_u32 v58, v112, 1, 0
	v_add_f16_e32 v69, v32, v40
	v_add_f16_e32 v70, v37, v42
	;; [unrolled: 1-line block ×3, first 2 shown]
	v_sub_f16_e32 v72, v32, v40
	v_sub_f16_e32 v73, v37, v42
	;; [unrolled: 1-line block ×3, first 2 shown]
	ds_write_b16 v58, v38 offset:3600
	ds_write_b16 v58, v50 offset:3720
	;; [unrolled: 1-line block ×6, first 2 shown]
	s_waitcnt lgkmcnt(0)
	; wave barrier
	s_waitcnt lgkmcnt(0)
	ds_read_u16 v33, v0 offset:3000
	ds_read_u16 v36, v6
	ds_read_u16 v29, v0 offset:840
	ds_read_u16 v41, v0 offset:960
	;; [unrolled: 1-line block ×6, first 2 shown]
	ds_read_u16 v21, v0
	ds_read_u16 v52, v0 offset:360
	ds_read_u16 v40, v0 offset:480
	;; [unrolled: 1-line block ×25, first 2 shown]
	ds_read_u16 v30, v5
	ds_read_u16 v15, v0 offset:4200
	s_waitcnt lgkmcnt(0)
	; wave barrier
	s_waitcnt lgkmcnt(0)
	ds_write_b16 v0, v89
	ds_write_b16 v0, v84 offset:120
	ds_write_b16 v0, v82 offset:240
	;; [unrolled: 1-line block ×35, first 2 shown]
	s_waitcnt lgkmcnt(0)
	; wave barrier
	s_waitcnt lgkmcnt(0)
	s_and_saveexec_b64 s[6:7], vcc
	s_cbranch_execz .LBB0_21
; %bb.20:
	v_mul_u32_u24_e32 v18, 5, v10
	v_lshlrev_b32_e32 v18, 2, v18
	global_load_dwordx4 v[59:62], v18, s[12:13] offset:1400
	global_load_dword v20, v18, s[12:13] offset:1416
	v_mov_b32_e32 v18, 0xfffffed4
	v_mov_b32_e32 v68, 0
	v_mad_u32_u24 v67, v10, 5, v18
	v_lshlrev_b64 v[18:19], 2, v[67:68]
	v_mov_b32_e32 v58, s13
	v_add_co_u32_e32 v18, vcc, s12, v18
	v_addc_co_u32_e32 v19, vcc, v58, v19, vcc
	ds_read_u16 v73, v0 offset:1080
	ds_read_u16 v75, v0 offset:960
	;; [unrolled: 1-line block ×26, first 2 shown]
	global_load_dwordx4 v[63:66], v[18:19], off offset:1400
	global_load_dword v92, v[18:19], off offset:1416
	v_mul_lo_u32 v22, s5, v3
	v_mul_lo_u32 v23, s4, v4
	v_mad_u64_u32 v[3:4], s[4:5], s4, v3, 0
	v_add_co_u32_e32 v71, vcc, s12, v11
	v_add3_u32 v4, v4, v23, v22
	v_addc_co_u32_e32 v72, vcc, 0, v58, vcc
	ds_read_u16 v6, v6
	v_lshlrev_b64 v[3:4], 2, v[3:4]
	s_waitcnt vmcnt(3) lgkmcnt(14)
	v_mul_f16_sdwa v19, v47, v60 dst_sel:DWORD dst_unused:UNUSED_PAD src0_sel:DWORD src1_sel:WORD_1
	v_mul_f16_sdwa v22, v46, v62 dst_sel:DWORD dst_unused:UNUSED_PAD src0_sel:DWORD src1_sel:WORD_1
	s_waitcnt lgkmcnt(8)
	v_mul_f16_sdwa v23, v59, v70 dst_sel:DWORD dst_unused:UNUSED_PAD src0_sel:WORD_1 src1_sel:DWORD
	s_waitcnt lgkmcnt(4)
	v_mul_f16_sdwa v67, v61, v88 dst_sel:DWORD dst_unused:UNUSED_PAD src0_sel:WORD_1 src1_sel:DWORD
	v_mul_f16_sdwa v94, v14, v61 dst_sel:DWORD dst_unused:UNUSED_PAD src0_sel:DWORD src1_sel:WORD_1
	s_waitcnt vmcnt(2)
	v_mul_f16_sdwa v95, v15, v20 dst_sel:DWORD dst_unused:UNUSED_PAD src0_sel:DWORD src1_sel:WORD_1
	v_mul_f16_sdwa v11, v13, v60 dst_sel:DWORD dst_unused:UNUSED_PAD src0_sel:DWORD src1_sel:WORD_1
	;; [unrolled: 1-line block ×3, first 2 shown]
	s_waitcnt lgkmcnt(2)
	v_mul_f16_sdwa v93, v20, v90 dst_sel:DWORD dst_unused:UNUSED_PAD src0_sel:WORD_1 src1_sel:DWORD
	v_mul_f16_sdwa v96, v12, v59 dst_sel:DWORD dst_unused:UNUSED_PAD src0_sel:DWORD src1_sel:WORD_1
	v_fma_f16 v19, v13, v60, v19
	v_fma_f16 v17, v17, v62, v22
	v_fma_f16 v22, v12, v59, v23
	v_fma_f16 v23, v14, v61, v67
	v_fma_f16 v13, v61, v88, -v94
	v_fma_f16 v14, v20, v90, -v95
	;; [unrolled: 1-line block ×4, first 2 shown]
	v_fma_f16 v46, v15, v20, v93
	v_fma_f16 v15, v59, v70, -v96
	v_add_f16_e32 v60, v13, v14
	v_add_f16_e32 v11, v47, v18
	;; [unrolled: 1-line block ×3, first 2 shown]
	v_sub_f16_e32 v59, v13, v14
	v_sub_f16_e32 v61, v23, v46
	v_fma_f16 v60, v60, -0.5, v15
	v_add_f16_e32 v13, v15, v13
	v_sub_f16_e32 v12, v19, v17
	v_fma_f16 v11, v11, -0.5, v44
	v_fma_f16 v20, v20, -0.5, v22
	v_fma_f16 v70, v61, s0, v60
	v_add_f16_e32 v44, v44, v47
	v_add_f16_e32 v90, v13, v14
	;; [unrolled: 1-line block ×3, first 2 shown]
	v_fma_f16 v62, v12, s0, v11
	v_fma_f16 v67, v59, s1, v20
	v_fma_f16 v88, v12, s1, v11
	v_fma_f16 v20, v59, s0, v20
	v_fma_f16 v59, v61, s1, v60
	v_mul_f16_e32 v11, -0.5, v70
	v_add_f16_e32 v44, v44, v18
	v_fma_f16 v14, v13, -0.5, v16
	v_sub_f16_e32 v18, v47, v18
	v_mul_f16_e32 v13, 0xbaee, v70
	v_add_f16_e32 v16, v16, v19
	v_mul_f16_e32 v12, 0.5, v59
	v_fma_f16 v60, v67, s1, v11
	v_sub_f16_e32 v15, v44, v90
	v_fma_f16 v47, v18, s1, v14
	v_fma_f16 v67, v67, -0.5, v13
	v_fma_f16 v70, v18, s0, v14
	v_mul_f16_e32 v14, 0xbaee, v59
	v_add_f16_e32 v59, v16, v17
	v_add_f16_e32 v16, v22, v23
	;; [unrolled: 1-line block ×3, first 2 shown]
	v_mov_b32_e32 v44, 0xfffffda8
	v_sub_f16_e32 v13, v47, v67
	v_add_f16_e32 v18, v47, v67
	v_mad_u32_u24 v67, v10, 5, v44
	v_add_f16_e32 v23, v16, v46
	v_lshlrev_b64 v[46:47], 2, v[67:68]
	v_fma_f16 v61, v20, s1, v12
	v_add_co_u32_e32 v46, vcc, s12, v46
	v_addc_co_u32_e32 v47, vcc, v58, v47, vcc
	v_sub_f16_e32 v11, v62, v60
	v_sub_f16_e32 v12, v88, v61
	;; [unrolled: 1-line block ×3, first 2 shown]
	v_add_f16_e32 v17, v62, v60
	v_add_f16_e32 v19, v88, v61
	;; [unrolled: 1-line block ×3, first 2 shown]
	global_load_dwordx4 v[59:62], v[46:47], off offset:1400
	global_load_dword v94, v[46:47], off offset:1416
	s_waitcnt vmcnt(3)
	v_mul_f16_sdwa v10, v42, v64 dst_sel:DWORD dst_unused:UNUSED_PAD src0_sel:DWORD src1_sel:WORD_1
	v_fma_f16 v44, v64, v69, -v10
	v_mul_f16_sdwa v10, v38, v66 dst_sel:DWORD dst_unused:UNUSED_PAD src0_sel:DWORD src1_sel:WORD_1
	v_fma_f16 v67, v66, v51, -v10
	v_fma_f16 v20, v20, 0.5, v14
	v_add_f16_e32 v10, v44, v67
	v_sub_f16_e32 v14, v70, v20
	v_add_f16_e32 v20, v70, v20
	v_fma_f16 v70, v10, -0.5, v49
	v_mul_f16_sdwa v10, v69, v64 dst_sel:DWORD dst_unused:UNUSED_PAD src0_sel:DWORD src1_sel:WORD_1
	v_fma_f16 v42, v42, v64, v10
	v_mul_f16_sdwa v10, v51, v66 dst_sel:DWORD dst_unused:UNUSED_PAD src0_sel:DWORD src1_sel:WORD_1
	v_fma_f16 v51, v38, v66, v10
	v_mul_f16_sdwa v10, v63, v85 dst_sel:DWORD dst_unused:UNUSED_PAD src0_sel:WORD_1 src1_sel:DWORD
	v_fma_f16 v66, v32, v63, v10
	v_mul_f16_sdwa v10, v65, v89 dst_sel:DWORD dst_unused:UNUSED_PAD src0_sel:WORD_1 src1_sel:DWORD
	v_fma_f16 v69, v35, v65, v10
	s_waitcnt vmcnt(2) lgkmcnt(1)
	v_mul_f16_sdwa v10, v92, v91 dst_sel:DWORD dst_unused:UNUSED_PAD src0_sel:WORD_1 src1_sel:DWORD
	v_fma_f16 v46, v37, v92, v10
	v_add_f16_e32 v10, v69, v46
	v_fma_f16 v47, v10, -0.5, v66
	v_mul_f16_sdwa v10, v35, v65 dst_sel:DWORD dst_unused:UNUSED_PAD src0_sel:DWORD src1_sel:WORD_1
	v_fma_f16 v65, v65, v89, -v10
	v_mul_f16_sdwa v10, v37, v92 dst_sel:DWORD dst_unused:UNUSED_PAD src0_sel:DWORD src1_sel:WORD_1
	v_fma_f16 v37, v92, v91, -v10
	;; [unrolled: 2-line block ×3, first 2 shown]
	v_add_f16_e32 v10, v65, v37
	v_fma_f16 v63, v10, -0.5, v32
	v_sub_f16_e32 v85, v69, v46
	v_add_f16_e32 v32, v32, v65
	v_sub_f16_e32 v38, v42, v51
	v_sub_f16_e32 v35, v65, v37
	v_fma_f16 v91, v85, s0, v63
	v_add_f16_e32 v65, v32, v37
	v_add_f16_e32 v32, v42, v51
	v_fma_f16 v64, v38, s0, v70
	v_fma_f16 v89, v35, s1, v47
	v_mul_f16_e32 v10, -0.5, v91
	v_fma_f16 v70, v38, s1, v70
	v_add_f16_e32 v38, v49, v44
	v_fma_f16 v37, v32, -0.5, v40
	v_sub_f16_e32 v44, v44, v67
	v_mul_f16_e32 v32, 0xbaee, v91
	v_add_f16_e32 v40, v40, v42
	v_fma_f16 v92, v89, s1, v10
	v_fma_f16 v63, v85, s1, v63
	v_add_f16_e32 v49, v38, v67
	v_fma_f16 v67, v44, s1, v37
	v_fma_f16 v89, v89, -0.5, v32
	v_add_f16_e32 v51, v40, v51
	v_add_f16_e32 v40, v66, v69
	v_fma_f16 v47, v35, s0, v47
	v_mul_f16_e32 v35, 0.5, v63
	v_sub_f16_e32 v32, v67, v89
	v_fma_f16 v91, v44, s0, v37
	v_mul_f16_e32 v37, 0xbaee, v63
	v_add_f16_e32 v63, v40, v46
	v_add_f16_e32 v44, v67, v89
	v_mul_i32_i24_e32 v67, 5, v9
	v_sub_f16_e32 v10, v64, v92
	v_sub_f16_e32 v40, v51, v63
	v_add_f16_e32 v42, v64, v92
	v_add_f16_e32 v51, v51, v63
	v_lshlrev_b64 v[63:64], 2, v[67:68]
	v_fma_f16 v85, v47, s1, v35
	v_add_co_u32_e32 v69, vcc, s12, v63
	v_sub_f16_e32 v35, v70, v85
	v_add_f16_e32 v46, v70, v85
	v_addc_co_u32_e32 v70, vcc, v58, v64, vcc
	v_sub_f16_e32 v38, v49, v65
	v_add_f16_e32 v49, v49, v65
	global_load_dwordx4 v[63:66], v[69:70], off offset:1400
	global_load_dword v96, v[69:70], off offset:1416
	ds_read_u16 v88, v0 offset:3240
	ds_read_u16 v93, v0 offset:2520
	;; [unrolled: 1-line block ×3, first 2 shown]
	s_waitcnt vmcnt(3)
	v_mul_f16_sdwa v9, v57, v60 dst_sel:DWORD dst_unused:UNUSED_PAD src0_sel:DWORD src1_sel:WORD_1
	v_fma_f16 v67, v60, v81, -v9
	v_mul_f16_sdwa v9, v56, v62 dst_sel:DWORD dst_unused:UNUSED_PAD src0_sel:DWORD src1_sel:WORD_1
	s_waitcnt lgkmcnt(2)
	v_fma_f16 v89, v62, v88, -v9
	v_fma_f16 v47, v47, 0.5, v37
	v_add_f16_e32 v9, v67, v89
	v_sub_f16_e32 v37, v91, v47
	v_add_f16_e32 v47, v91, v47
	ds_read_u16 v91, v0
	s_waitcnt lgkmcnt(1)
	v_fma_f16 v92, v9, -0.5, v90
	v_mul_f16_sdwa v9, v81, v60 dst_sel:DWORD dst_unused:UNUSED_PAD src0_sel:DWORD src1_sel:WORD_1
	v_fma_f16 v57, v57, v60, v9
	v_mul_f16_sdwa v9, v88, v62 dst_sel:DWORD dst_unused:UNUSED_PAD src0_sel:DWORD src1_sel:WORD_1
	v_fma_f16 v60, v56, v62, v9
	v_mul_f16_sdwa v9, v59, v73 dst_sel:DWORD dst_unused:UNUSED_PAD src0_sel:WORD_1 src1_sel:DWORD
	v_fma_f16 v81, v53, v59, v9
	v_mul_f16_sdwa v9, v61, v93 dst_sel:DWORD dst_unused:UNUSED_PAD src0_sel:WORD_1 src1_sel:DWORD
	v_fma_f16 v95, v55, v61, v9
	s_waitcnt vmcnt(2)
	v_mul_f16_sdwa v9, v94, v74 dst_sel:DWORD dst_unused:UNUSED_PAD src0_sel:WORD_1 src1_sel:DWORD
	v_fma_f16 v69, v54, v94, v9
	v_add_f16_e32 v9, v95, v69
	v_fma_f16 v70, v9, -0.5, v81
	v_mul_f16_sdwa v9, v55, v61 dst_sel:DWORD dst_unused:UNUSED_PAD src0_sel:DWORD src1_sel:WORD_1
	v_fma_f16 v55, v61, v93, -v9
	v_mul_f16_sdwa v9, v54, v94 dst_sel:DWORD dst_unused:UNUSED_PAD src0_sel:DWORD src1_sel:WORD_1
	v_fma_f16 v61, v94, v74, -v9
	;; [unrolled: 2-line block ×3, first 2 shown]
	v_add_f16_e32 v9, v55, v61
	v_sub_f16_e32 v56, v57, v60
	v_sub_f16_e32 v54, v55, v61
	v_fma_f16 v59, v9, -0.5, v53
	v_add_f16_e32 v53, v53, v55
	v_fma_f16 v62, v56, s0, v92
	v_fma_f16 v74, v54, s1, v70
	v_sub_f16_e32 v73, v95, v69
	v_fma_f16 v92, v56, s1, v92
	v_fma_f16 v56, v54, s0, v70
	v_add_f16_e32 v70, v90, v67
	v_add_f16_e32 v61, v53, v61
	;; [unrolled: 1-line block ×3, first 2 shown]
	v_fma_f16 v93, v73, s0, v59
	v_fma_f16 v59, v73, s1, v59
	v_add_f16_e32 v90, v70, v89
	v_fma_f16 v70, v53, -0.5, v52
	v_sub_f16_e32 v67, v67, v89
	v_mul_f16_e32 v54, 0.5, v59
	v_fma_f16 v89, v67, s1, v70
	v_fma_f16 v98, v67, s0, v70
	v_mul_f16_e32 v59, 0xbaee, v59
	v_add_f16_e32 v52, v52, v57
	v_mul_i32_i24_e32 v67, 5, v8
	v_fma_f16 v99, v56, 0.5, v59
	v_add_f16_e32 v100, v52, v60
	v_lshlrev_b64 v[59:60], 2, v[67:68]
	ds_read_u16 v85, v0 offset:3120
	v_mul_f16_e32 v9, -0.5, v93
	v_mul_f16_e32 v53, 0xbaee, v93
	v_add_co_u32_e32 v73, vcc, s12, v59
	v_fma_f16 v94, v74, s1, v9
	v_sub_f16_e32 v55, v90, v61
	v_fma_f16 v93, v74, -0.5, v53
	v_addc_co_u32_e32 v74, vcc, v58, v60, vcc
	v_add_f16_e32 v60, v90, v61
	ds_read_u16 v90, v5
	ds_read_u16 v88, v0 offset:2400
	v_add_f16_e32 v52, v81, v95
	v_sub_f16_e32 v9, v62, v94
	v_add_f16_e32 v81, v52, v69
	v_add_f16_e32 v8, v62, v94
	v_sub_f16_e32 v52, v100, v81
	v_add_f16_e32 v61, v100, v81
	global_load_dwordx4 v[67:70], v[73:74], off offset:1400
	s_waitcnt vmcnt(2)
	v_mul_f16_sdwa v5, v82, v64 dst_sel:DWORD dst_unused:UNUSED_PAD src0_sel:DWORD src1_sel:WORD_1
	v_mul_f16_sdwa v62, v50, v64 dst_sel:DWORD dst_unused:UNUSED_PAD src0_sel:DWORD src1_sel:WORD_1
	v_fma_f16 v50, v50, v64, v5
	s_waitcnt lgkmcnt(2)
	v_mul_f16_sdwa v5, v85, v66 dst_sel:DWORD dst_unused:UNUSED_PAD src0_sel:DWORD src1_sel:WORD_1
	v_mul_f16_sdwa v81, v48, v66 dst_sel:DWORD dst_unused:UNUSED_PAD src0_sel:DWORD src1_sel:WORD_1
	v_fma_f16 v48, v48, v66, v5
	v_mul_f16_sdwa v5, v63, v75 dst_sel:DWORD dst_unused:UNUSED_PAD src0_sel:WORD_1 src1_sel:DWORD
	v_fma_f16 v62, v64, v82, -v62
	ds_read_u16 v82, v0 offset:2280
	global_load_dword v73, v[73:74], off offset:1416
	v_fma_f16 v74, v41, v63, v5
	s_waitcnt lgkmcnt(1)
	v_mul_f16_sdwa v5, v65, v88 dst_sel:DWORD dst_unused:UNUSED_PAD src0_sel:WORD_1 src1_sel:DWORD
	v_fma_f16 v97, v56, s1, v54
	v_fma_f16 v81, v66, v85, -v81
	v_fma_f16 v85, v45, v65, v5
	s_waitcnt vmcnt(2)
	v_mul_f16_sdwa v5, v96, v78 dst_sel:DWORD dst_unused:UNUSED_PAD src0_sel:WORD_1 src1_sel:DWORD
	v_sub_f16_e32 v54, v92, v97
	v_add_f16_e32 v58, v92, v97
	v_fma_f16 v92, v43, v96, v5
	v_add_f16_e32 v5, v85, v92
	v_sub_f16_e32 v53, v89, v93
	v_add_f16_e32 v57, v89, v93
	v_fma_f16 v93, v5, -0.5, v74
	v_mul_f16_sdwa v5, v45, v65 dst_sel:DWORD dst_unused:UNUSED_PAD src0_sel:DWORD src1_sel:WORD_1
	v_fma_f16 v45, v65, v88, -v5
	v_mul_f16_sdwa v5, v43, v96 dst_sel:DWORD dst_unused:UNUSED_PAD src0_sel:DWORD src1_sel:WORD_1
	v_add_f16_e32 v89, v62, v81
	v_fma_f16 v43, v96, v78, -v5
	v_mul_f16_sdwa v5, v41, v63 dst_sel:DWORD dst_unused:UNUSED_PAD src0_sel:DWORD src1_sel:WORD_1
	v_fma_f16 v41, v63, v75, -v5
	ds_read_u16 v0, v0 offset:2160
	v_fma_f16 v89, v89, -0.5, v6
	v_add_f16_e32 v6, v6, v62
	v_add_f16_e32 v5, v45, v43
	;; [unrolled: 1-line block ×4, first 2 shown]
	v_fma_f16 v63, v5, -0.5, v41
	v_sub_f16_e32 v75, v85, v92
	v_add_f16_e32 v41, v6, v43
	v_add_f16_e32 v6, v50, v48
	v_sub_f16_e32 v64, v50, v48
	v_sub_f16_e32 v65, v45, v43
	v_fma_f16 v88, v75, s0, v63
	v_fma_f16 v63, v75, s1, v63
	v_fma_f16 v45, v6, -0.5, v36
	v_sub_f16_e32 v62, v62, v81
	v_fma_f16 v66, v64, s0, v89
	v_fma_f16 v78, v65, s1, v93
	v_fma_f16 v89, v64, s1, v89
	v_fma_f16 v64, v65, s0, v93
	v_mul_f16_e32 v65, 0.5, v63
	v_fma_f16 v81, v62, s1, v45
	v_fma_f16 v45, v62, s0, v45
	v_mul_f16_e32 v62, 0xbaee, v63
	v_mul_f16_e32 v5, -0.5, v88
	v_fma_f16 v75, v64, s1, v65
	v_mul_f16_e32 v6, 0xbaee, v88
	v_fma_f16 v88, v64, 0.5, v62
	global_load_dwordx4 v[62:65], v[71:72], off offset:1400
	v_add_f16_e32 v36, v36, v50
	global_load_dword v71, v[71:72], off offset:1416
	v_add_f16_e32 v36, v36, v48
	v_add_f16_e32 v48, v74, v85
	;; [unrolled: 1-line block ×3, first 2 shown]
	v_sub_f16_e32 v50, v36, v48
	v_add_f16_e32 v36, v36, v48
	v_fma_f16 v94, v78, s1, v5
	v_fma_f16 v78, v78, -0.5, v6
	v_sub_f16_e32 v93, v89, v75
	v_sub_f16_e32 v6, v81, v78
	v_add_f16_e32 v74, v89, v75
	v_add_f16_e32 v75, v81, v78
	v_sub_f16_e32 v96, v45, v88
	v_add_f16_e32 v45, v45, v88
	v_add_co_u32_e32 v3, vcc, s10, v3
	v_sub_f16_e32 v5, v66, v94
	v_sub_f16_e32 v43, v95, v41
	v_add_f16_e32 v41, v95, v41
	s_waitcnt vmcnt(3)
	v_mul_f16_sdwa v48, v39, v68 dst_sel:DWORD dst_unused:UNUSED_PAD src0_sel:DWORD src1_sel:WORD_1
	v_fma_f16 v48, v68, v83, -v48
	v_mul_f16_sdwa v72, v83, v68 dst_sel:DWORD dst_unused:UNUSED_PAD src0_sel:DWORD src1_sel:WORD_1
	s_waitcnt lgkmcnt(1)
	v_mul_f16_sdwa v83, v69, v82 dst_sel:DWORD dst_unused:UNUSED_PAD src0_sel:WORD_1 src1_sel:DWORD
	v_fma_f16 v39, v39, v68, v72
	v_mul_f16_sdwa v72, v67, v76 dst_sel:DWORD dst_unused:UNUSED_PAD src0_sel:WORD_1 src1_sel:DWORD
	v_fma_f16 v83, v34, v69, v83
	v_mul_f16_sdwa v34, v34, v69 dst_sel:DWORD dst_unused:UNUSED_PAD src0_sel:DWORD src1_sel:WORD_1
	v_fma_f16 v72, v29, v67, v72
	v_fma_f16 v34, v69, v82, -v34
	s_waitcnt vmcnt(2)
	v_mul_f16_sdwa v85, v73, v79 dst_sel:DWORD dst_unused:UNUSED_PAD src0_sel:WORD_1 src1_sel:DWORD
	v_fma_f16 v85, v31, v73, v85
	v_mul_f16_sdwa v31, v31, v73 dst_sel:DWORD dst_unused:UNUSED_PAD src0_sel:DWORD src1_sel:WORD_1
	v_fma_f16 v31, v73, v79, -v31
	v_mul_f16_sdwa v29, v29, v67 dst_sel:DWORD dst_unused:UNUSED_PAD src0_sel:DWORD src1_sel:WORD_1
	v_mul_f16_sdwa v78, v33, v70 dst_sel:DWORD dst_unused:UNUSED_PAD src0_sel:DWORD src1_sel:WORD_1
	;; [unrolled: 1-line block ×3, first 2 shown]
	v_fma_f16 v29, v67, v76, -v29
	v_add_f16_e32 v67, v34, v31
	v_fma_f16 v78, v70, v86, -v78
	v_fma_f16 v33, v33, v70, v68
	v_add_f16_e32 v86, v83, v85
	v_fma_f16 v67, v67, -0.5, v29
	v_sub_f16_e32 v76, v83, v85
	v_add_f16_e32 v81, v48, v78
	v_fma_f16 v86, v86, -0.5, v72
	v_sub_f16_e32 v69, v34, v31
	v_fma_f16 v79, v76, s0, v67
	v_fma_f16 v67, v76, s1, v67
	v_add_f16_e32 v29, v29, v34
	v_add_f16_e32 v34, v39, v33
	v_fma_f16 v81, v81, -0.5, v90
	v_sub_f16_e32 v68, v39, v33
	v_fma_f16 v73, v69, s1, v86
	v_mul_f16_e32 v82, -0.5, v79
	v_fma_f16 v69, v69, s0, v86
	v_mul_f16_e32 v76, 0.5, v67
	v_add_f16_e32 v86, v90, v48
	v_fma_f16 v34, v34, -0.5, v30
	v_sub_f16_e32 v48, v48, v78
	v_mul_f16_e32 v79, 0xbaee, v79
	v_add_f16_e32 v30, v30, v39
	v_fma_f16 v70, v68, s0, v81
	v_fma_f16 v82, v73, s1, v82
	;; [unrolled: 1-line block ×4, first 2 shown]
	v_add_f16_e32 v86, v86, v78
	v_fma_f16 v78, v48, s1, v34
	v_fma_f16 v73, v73, -0.5, v79
	v_fma_f16 v34, v48, s0, v34
	v_mul_f16_e32 v48, 0xbaee, v67
	v_add_f16_e32 v30, v30, v33
	v_add_f16_e32 v33, v72, v83
	v_sub_f16_e32 v88, v70, v82
	v_sub_f16_e32 v81, v68, v76
	;; [unrolled: 1-line block ×3, first 2 shown]
	v_fma_f16 v48, v69, 0.5, v48
	v_add_f16_e32 v33, v33, v85
	v_add_f16_e32 v69, v70, v82
	;; [unrolled: 1-line block ×4, first 2 shown]
	s_waitcnt vmcnt(1)
	v_mul_f16_sdwa v73, v84, v63 dst_sel:DWORD dst_unused:UNUSED_PAD src0_sel:DWORD src1_sel:WORD_1
	s_waitcnt lgkmcnt(0)
	v_mul_f16_sdwa v76, v64, v0 dst_sel:DWORD dst_unused:UNUSED_PAD src0_sel:WORD_1 src1_sel:DWORD
	v_sub_f16_e32 v39, v30, v33
	v_add_f16_e32 v30, v30, v33
	v_mul_f16_sdwa v33, v27, v63 dst_sel:DWORD dst_unused:UNUSED_PAD src0_sel:DWORD src1_sel:WORD_1
	v_fma_f16 v27, v27, v63, v73
	v_mul_f16_sdwa v73, v62, v77 dst_sel:DWORD dst_unused:UNUSED_PAD src0_sel:WORD_1 src1_sel:DWORD
	v_fma_f16 v76, v24, v64, v76
	v_mul_f16_sdwa v24, v24, v64 dst_sel:DWORD dst_unused:UNUSED_PAD src0_sel:DWORD src1_sel:WORD_1
	v_fma_f16 v73, v25, v62, v73
	s_waitcnt vmcnt(0)
	v_mul_f16_sdwa v78, v71, v80 dst_sel:DWORD dst_unused:UNUSED_PAD src0_sel:WORD_1 src1_sel:DWORD
	v_fma_f16 v0, v64, v0, -v24
	v_mul_f16_sdwa v24, v26, v71 dst_sel:DWORD dst_unused:UNUSED_PAD src0_sel:DWORD src1_sel:WORD_1
	v_mul_f16_sdwa v25, v25, v62 dst_sel:DWORD dst_unused:UNUSED_PAD src0_sel:DWORD src1_sel:WORD_1
	v_fma_f16 v33, v63, v84, -v33
	v_mul_f16_sdwa v63, v87, v65 dst_sel:DWORD dst_unused:UNUSED_PAD src0_sel:DWORD src1_sel:WORD_1
	v_fma_f16 v78, v26, v71, v78
	v_fma_f16 v24, v71, v80, -v24
	v_fma_f16 v25, v62, v77, -v25
	v_sub_f16_e32 v67, v34, v48
	v_add_f16_e32 v34, v34, v48
	v_mul_f16_sdwa v48, v28, v65 dst_sel:DWORD dst_unused:UNUSED_PAD src0_sel:DWORD src1_sel:WORD_1
	v_fma_f16 v28, v28, v65, v63
	v_add_f16_e32 v82, v76, v78
	v_sub_f16_e32 v26, v0, v24
	v_add_f16_e32 v62, v0, v24
	v_add_f16_e32 v0, v25, v0
	v_fma_f16 v48, v65, v87, -v48
	v_fma_f16 v82, v82, -0.5, v73
	v_fma_f16 v62, v62, -0.5, v25
	v_sub_f16_e32 v71, v76, v78
	v_add_f16_e32 v0, v0, v24
	v_add_f16_e32 v24, v27, v28
	;; [unrolled: 1-line block ×3, first 2 shown]
	v_fma_f16 v64, v26, s1, v82
	v_fma_f16 v77, v71, s0, v62
	;; [unrolled: 1-line block ×4, first 2 shown]
	v_add_f16_e32 v82, v91, v33
	v_fma_f16 v24, v24, -0.5, v21
	v_sub_f16_e32 v25, v33, v48
	v_fma_f16 v72, v72, -0.5, v91
	v_sub_f16_e32 v63, v27, v28
	v_mul_f16_e32 v80, -0.5, v77
	v_add_f16_e32 v82, v82, v48
	v_fma_f16 v33, v25, s1, v24
	v_mul_f16_e32 v48, 0xbaee, v77
	v_fma_f16 v77, v25, s0, v24
	v_mul_f16_e32 v24, 0xbaee, v62
	v_fma_f16 v65, v63, s0, v72
	v_mul_f16_e32 v71, 0.5, v62
	v_fma_f16 v62, v26, 0.5, v24
	v_lshrrev_b32_e32 v24, 3, v7
	s_mov_b32 s0, 0x16c16c17
	v_mul_hi_u32 v24, v24, s0
	v_add_f16_e32 v25, v73, v76
	v_add_f16_e32 v21, v21, v27
	;; [unrolled: 1-line block ×3, first 2 shown]
	v_lshrrev_b32_e32 v24, 2, v24
	v_mul_u32_u24_e32 v24, 0x168, v24
	v_sub_u32_e32 v73, v7, v24
	v_mad_u64_u32 v[24:25], s[4:5], s2, v73, 0
	v_fma_f16 v63, v63, s1, v72
	v_fma_f16 v71, v26, s1, v71
	v_sub_f16_e32 v72, v63, v71
	v_sub_f16_e32 v84, v82, v0
	v_add_f16_e32 v63, v63, v71
	v_add_f16_e32 v71, v82, v0
	v_mov_b32_e32 v0, v25
	v_mad_u64_u32 v[25:26], s[4:5], s3, v73, v[0:1]
	v_mov_b32_e32 v0, s11
	v_addc_co_u32_e32 v4, vcc, v0, v4, vcc
	v_lshlrev_b64 v[0:1], 2, v[1:2]
	v_add_u32_e32 v26, 0x168, v73
	v_add_co_u32_e32 v0, vcc, v3, v0
	v_lshlrev_b64 v[2:3], 2, v[24:25]
	v_mad_u64_u32 v[24:25], s[4:5], s2, v26, 0
	v_fma_f16 v48, v64, -0.5, v48
	v_addc_co_u32_e32 v1, vcc, v4, v1, vcc
	v_mov_b32_e32 v4, v25
	v_fma_f16 v80, v64, s1, v80
	v_sub_f16_e32 v64, v33, v48
	v_sub_f16_e32 v85, v77, v62
	v_add_f16_e32 v21, v21, v28
	v_add_f16_e32 v33, v33, v48
	;; [unrolled: 1-line block ×3, first 2 shown]
	v_mad_u64_u32 v[25:26], s[4:5], s3, v26, v[4:5]
	v_add_u32_e32 v62, 0x2d0, v73
	v_sub_f16_e32 v28, v21, v27
	v_add_f16_e32 v21, v21, v27
	v_mad_u64_u32 v[26:27], s[4:5], s2, v62, 0
	v_add_co_u32_e32 v2, vcc, v0, v2
	v_addc_co_u32_e32 v3, vcc, v1, v3, vcc
	v_pack_b32_f16 v21, v21, v71
	v_mov_b32_e32 v4, v27
	global_store_dword v[2:3], v21, off
	v_lshlrev_b64 v[2:3], 2, v[24:25]
	v_mad_u64_u32 v[24:25], s[4:5], s3, v62, v[4:5]
	v_add_u32_e32 v21, 0x438, v73
	v_add_co_u32_e32 v2, vcc, v0, v2
	v_mov_b32_e32 v27, v24
	v_mad_u64_u32 v[24:25], s[4:5], s2, v21, 0
	v_addc_co_u32_e32 v3, vcc, v1, v3, vcc
	v_pack_b32_f16 v4, v48, v63
	global_store_dword v[2:3], v4, off
	v_mov_b32_e32 v4, v25
	v_lshlrev_b64 v[2:3], 2, v[26:27]
	v_mad_u64_u32 v[25:26], s[4:5], s3, v21, v[4:5]
	v_add_u32_e32 v21, 0x5a0, v73
	v_mad_u64_u32 v[26:27], s[4:5], s2, v21, 0
	v_sub_f16_e32 v83, v65, v80
	v_add_f16_e32 v65, v65, v80
	v_add_co_u32_e32 v2, vcc, v0, v2
	v_addc_co_u32_e32 v3, vcc, v1, v3, vcc
	v_pack_b32_f16 v33, v33, v65
	v_mov_b32_e32 v4, v27
	global_store_dword v[2:3], v33, off
	v_lshlrev_b64 v[2:3], 2, v[24:25]
	v_mad_u64_u32 v[24:25], s[4:5], s3, v21, v[4:5]
	v_add_co_u32_e32 v2, vcc, v0, v2
	v_addc_co_u32_e32 v3, vcc, v1, v3, vcc
	v_pack_b32_f16 v4, v28, v84
	v_mov_b32_e32 v27, v24
	global_store_dword v[2:3], v4, off
	v_lshlrev_b64 v[2:3], 2, v[26:27]
	v_add_u32_e32 v26, 0x708, v73
	v_add_u32_e32 v27, 60, v7
	v_mad_u64_u32 v[24:25], s[4:5], s2, v26, 0
	v_lshrrev_b32_e32 v4, 3, v27
	v_mul_hi_u32 v28, v4, s0
	v_mov_b32_e32 v4, v25
	v_mad_u64_u32 v[25:26], s[4:5], s3, v26, v[4:5]
	v_lshrrev_b32_e32 v4, 2, v28
	v_mul_u32_u24_e32 v26, 0x168, v4
	v_sub_u32_e32 v26, v27, v26
	s_movk_i32 s1, 0x870
	v_mad_u32_u24 v28, v4, s1, v26
	v_mad_u64_u32 v[26:27], s[4:5], s2, v28, 0
	v_add_co_u32_e32 v2, vcc, v0, v2
	v_addc_co_u32_e32 v3, vcc, v1, v3, vcc
	v_pack_b32_f16 v21, v85, v72
	v_mov_b32_e32 v4, v27
	global_store_dword v[2:3], v21, off
	v_lshlrev_b64 v[2:3], 2, v[24:25]
	v_mad_u64_u32 v[24:25], s[4:5], s3, v28, v[4:5]
	v_add_u32_e32 v21, 0x168, v28
	v_add_co_u32_e32 v2, vcc, v0, v2
	v_mov_b32_e32 v27, v24
	v_mad_u64_u32 v[24:25], s[4:5], s2, v21, 0
	v_addc_co_u32_e32 v3, vcc, v1, v3, vcc
	v_pack_b32_f16 v4, v64, v83
	global_store_dword v[2:3], v4, off
	v_mov_b32_e32 v4, v25
	v_lshlrev_b64 v[2:3], 2, v[26:27]
	v_mad_u64_u32 v[25:26], s[4:5], s3, v21, v[4:5]
	v_add_u32_e32 v21, 0x2d0, v28
	v_mad_u64_u32 v[26:27], s[4:5], s2, v21, 0
	v_add_f16_e32 v29, v29, v31
	v_sub_f16_e32 v31, v86, v29
	v_add_f16_e32 v29, v86, v29
	v_add_co_u32_e32 v2, vcc, v0, v2
	v_addc_co_u32_e32 v3, vcc, v1, v3, vcc
	v_pack_b32_f16 v29, v30, v29
	v_mov_b32_e32 v4, v27
	global_store_dword v[2:3], v29, off
	v_lshlrev_b64 v[2:3], 2, v[24:25]
	v_mad_u64_u32 v[24:25], s[4:5], s3, v21, v[4:5]
	v_add_u32_e32 v21, 0x438, v28
	v_add_co_u32_e32 v2, vcc, v0, v2
	v_mov_b32_e32 v27, v24
	v_mad_u64_u32 v[24:25], s[4:5], s2, v21, 0
	v_addc_co_u32_e32 v3, vcc, v1, v3, vcc
	v_pack_b32_f16 v4, v34, v68
	global_store_dword v[2:3], v4, off
	v_mov_b32_e32 v4, v25
	v_lshlrev_b64 v[2:3], 2, v[26:27]
	v_mad_u64_u32 v[25:26], s[4:5], s3, v21, v[4:5]
	v_add_u32_e32 v21, 0x5a0, v28
	v_mad_u64_u32 v[26:27], s[4:5], s2, v21, 0
	v_add_co_u32_e32 v2, vcc, v0, v2
	v_addc_co_u32_e32 v3, vcc, v1, v3, vcc
	v_pack_b32_f16 v29, v70, v69
	v_mov_b32_e32 v4, v27
	global_store_dword v[2:3], v29, off
	v_lshlrev_b64 v[2:3], 2, v[24:25]
	v_mad_u64_u32 v[24:25], s[4:5], s3, v21, v[4:5]
	v_add_co_u32_e32 v2, vcc, v0, v2
	v_addc_co_u32_e32 v3, vcc, v1, v3, vcc
	v_pack_b32_f16 v4, v39, v31
	v_mov_b32_e32 v27, v24
	global_store_dword v[2:3], v4, off
	v_lshlrev_b64 v[2:3], 2, v[26:27]
	v_add_u32_e32 v26, 0x708, v28
	v_add_u32_e32 v27, 0x78, v7
	v_mad_u64_u32 v[24:25], s[4:5], s2, v26, 0
	v_lshrrev_b32_e32 v4, 3, v27
	v_mul_hi_u32 v28, v4, s0
	v_mov_b32_e32 v4, v25
	v_mad_u64_u32 v[25:26], s[4:5], s3, v26, v[4:5]
	v_lshrrev_b32_e32 v4, 2, v28
	v_mul_u32_u24_e32 v26, 0x168, v4
	v_sub_u32_e32 v26, v27, v26
	v_mad_u32_u24 v28, v4, s1, v26
	v_mad_u64_u32 v[26:27], s[4:5], s2, v28, 0
	v_add_co_u32_e32 v2, vcc, v0, v2
	v_addc_co_u32_e32 v3, vcc, v1, v3, vcc
	v_pack_b32_f16 v21, v67, v81
	v_mov_b32_e32 v4, v27
	global_store_dword v[2:3], v21, off
	v_lshlrev_b64 v[2:3], 2, v[24:25]
	v_mad_u64_u32 v[24:25], s[4:5], s3, v28, v[4:5]
	v_add_u32_e32 v21, 0x168, v28
	v_add_co_u32_e32 v2, vcc, v0, v2
	v_mov_b32_e32 v27, v24
	v_mad_u64_u32 v[24:25], s[4:5], s2, v21, 0
	v_addc_co_u32_e32 v3, vcc, v1, v3, vcc
	v_pack_b32_f16 v4, v79, v88
	global_store_dword v[2:3], v4, off
	v_mov_b32_e32 v4, v25
	v_lshlrev_b64 v[2:3], 2, v[26:27]
	v_mad_u64_u32 v[25:26], s[4:5], s3, v21, v[4:5]
	v_add_u32_e32 v21, 0x2d0, v28
	v_mad_u64_u32 v[26:27], s[4:5], s2, v21, 0
	v_add_co_u32_e32 v2, vcc, v0, v2
	v_addc_co_u32_e32 v3, vcc, v1, v3, vcc
	v_pack_b32_f16 v29, v36, v41
	v_mov_b32_e32 v4, v27
	global_store_dword v[2:3], v29, off
	v_lshlrev_b64 v[2:3], 2, v[24:25]
	v_mad_u64_u32 v[24:25], s[4:5], s3, v21, v[4:5]
	v_add_u32_e32 v21, 0x438, v28
	v_add_co_u32_e32 v2, vcc, v0, v2
	v_mov_b32_e32 v27, v24
	v_mad_u64_u32 v[24:25], s[4:5], s2, v21, 0
	v_addc_co_u32_e32 v3, vcc, v1, v3, vcc
	v_pack_b32_f16 v4, v45, v74
	global_store_dword v[2:3], v4, off
	v_mov_b32_e32 v4, v25
	v_lshlrev_b64 v[2:3], 2, v[26:27]
	v_mad_u64_u32 v[25:26], s[4:5], s3, v21, v[4:5]
	v_add_u32_e32 v21, 0x5a0, v28
	v_mad_u64_u32 v[26:27], s[4:5], s2, v21, 0
	v_add_f16_e32 v66, v66, v94
	v_add_co_u32_e32 v2, vcc, v0, v2
	v_addc_co_u32_e32 v3, vcc, v1, v3, vcc
	v_pack_b32_f16 v29, v75, v66
	v_mov_b32_e32 v4, v27
	global_store_dword v[2:3], v29, off
	v_lshlrev_b64 v[2:3], 2, v[24:25]
	v_mad_u64_u32 v[24:25], s[4:5], s3, v21, v[4:5]
	v_add_co_u32_e32 v2, vcc, v0, v2
	v_addc_co_u32_e32 v3, vcc, v1, v3, vcc
	v_pack_b32_f16 v4, v50, v43
	v_mov_b32_e32 v27, v24
	global_store_dword v[2:3], v4, off
	v_lshlrev_b64 v[2:3], 2, v[26:27]
	v_add_u32_e32 v26, 0x708, v28
	v_add_u32_e32 v27, 0xb4, v7
	v_mad_u64_u32 v[24:25], s[4:5], s2, v26, 0
	v_lshrrev_b32_e32 v4, 3, v27
	v_mul_hi_u32 v28, v4, s0
	v_mov_b32_e32 v4, v25
	v_mad_u64_u32 v[25:26], s[4:5], s3, v26, v[4:5]
	v_lshrrev_b32_e32 v4, 2, v28
	v_mul_u32_u24_e32 v26, 0x168, v4
	v_sub_u32_e32 v26, v27, v26
	v_mad_u32_u24 v28, v4, s1, v26
	v_add_co_u32_e32 v2, vcc, v0, v2
	v_mad_u64_u32 v[26:27], s[4:5], s2, v28, 0
	v_addc_co_u32_e32 v3, vcc, v1, v3, vcc
	v_pack_b32_f16 v21, v96, v93
	global_store_dword v[2:3], v21, off
	v_lshlrev_b64 v[2:3], 2, v[24:25]
	v_mov_b32_e32 v4, v27
	v_add_co_u32_e32 v2, vcc, v0, v2
	v_mad_u64_u32 v[24:25], s[4:5], s3, v28, v[4:5]
	v_addc_co_u32_e32 v3, vcc, v1, v3, vcc
	v_pack_b32_f16 v4, v6, v5
	v_add_u32_e32 v6, 0x168, v28
	global_store_dword v[2:3], v4, off
	v_mad_u64_u32 v[4:5], s[4:5], s2, v6, 0
	v_mov_b32_e32 v27, v24
	v_lshlrev_b64 v[2:3], 2, v[26:27]
	v_mad_u64_u32 v[5:6], s[4:5], s3, v6, v[5:6]
	v_add_u32_e32 v6, 0x2d0, v28
	v_mad_u64_u32 v[24:25], s[4:5], s2, v6, 0
	v_add_co_u32_e32 v2, vcc, v0, v2
	v_addc_co_u32_e32 v3, vcc, v1, v3, vcc
	v_pack_b32_f16 v21, v61, v60
	global_store_dword v[2:3], v21, off
	v_lshlrev_b64 v[2:3], 2, v[4:5]
	v_mov_b32_e32 v4, v25
	v_mad_u64_u32 v[4:5], s[4:5], s3, v6, v[4:5]
	v_add_f16_e32 v59, v98, v99
	v_add_co_u32_e32 v2, vcc, v0, v2
	v_addc_co_u32_e32 v3, vcc, v1, v3, vcc
	v_pack_b32_f16 v5, v59, v58
	v_add_u32_e32 v6, 0x438, v28
	global_store_dword v[2:3], v5, off
	v_mov_b32_e32 v25, v4
	v_mad_u64_u32 v[4:5], s[4:5], s2, v6, 0
	v_lshlrev_b64 v[2:3], 2, v[24:25]
	v_pack_b32_f16 v8, v57, v8
	v_mad_u64_u32 v[5:6], s[4:5], s3, v6, v[5:6]
	v_add_u32_e32 v6, 0x5a0, v28
	v_mad_u64_u32 v[24:25], s[4:5], s2, v6, 0
	v_add_co_u32_e32 v2, vcc, v0, v2
	v_addc_co_u32_e32 v3, vcc, v1, v3, vcc
	global_store_dword v[2:3], v8, off
	v_lshlrev_b64 v[2:3], 2, v[4:5]
	v_mov_b32_e32 v4, v25
	v_mad_u64_u32 v[4:5], s[4:5], s3, v6, v[4:5]
	v_add_co_u32_e32 v2, vcc, v0, v2
	v_addc_co_u32_e32 v3, vcc, v1, v3, vcc
	v_pack_b32_f16 v5, v52, v55
	v_mov_b32_e32 v25, v4
	v_add_u32_e32 v6, 0x708, v28
	v_add_u32_e32 v21, 0xf0, v7
	global_store_dword v[2:3], v5, off
	v_lshlrev_b64 v[2:3], 2, v[24:25]
	v_mad_u64_u32 v[4:5], s[4:5], s2, v6, 0
	v_lshrrev_b32_e32 v24, 3, v21
	v_mul_hi_u32 v24, v24, s0
	v_mad_u64_u32 v[5:6], s[4:5], s3, v6, v[5:6]
	v_sub_f16_e32 v56, v98, v99
	v_lshrrev_b32_e32 v6, 2, v24
	v_mul_u32_u24_e32 v24, 0x168, v6
	v_sub_u32_e32 v21, v21, v24
	v_mad_u32_u24 v21, v6, s1, v21
	v_mad_u64_u32 v[24:25], s[4:5], s2, v21, 0
	v_add_co_u32_e32 v2, vcc, v0, v2
	v_addc_co_u32_e32 v3, vcc, v1, v3, vcc
	v_pack_b32_f16 v8, v56, v54
	global_store_dword v[2:3], v8, off
	v_lshlrev_b64 v[2:3], 2, v[4:5]
	v_mov_b32_e32 v4, v25
	v_mad_u64_u32 v[4:5], s[4:5], s3, v21, v[4:5]
	v_add_co_u32_e32 v2, vcc, v0, v2
	v_addc_co_u32_e32 v3, vcc, v1, v3, vcc
	v_pack_b32_f16 v5, v53, v9
	v_add_u32_e32 v6, 0x168, v21
	global_store_dword v[2:3], v5, off
	v_mov_b32_e32 v25, v4
	v_mad_u64_u32 v[4:5], s[4:5], s2, v6, 0
	v_lshlrev_b64 v[2:3], 2, v[24:25]
	v_pack_b32_f16 v24, v51, v49
	v_mad_u64_u32 v[5:6], s[4:5], s3, v6, v[5:6]
	v_add_u32_e32 v6, 0x2d0, v21
	v_mad_u64_u32 v[8:9], s[4:5], s2, v6, 0
	v_add_co_u32_e32 v2, vcc, v0, v2
	v_addc_co_u32_e32 v3, vcc, v1, v3, vcc
	global_store_dword v[2:3], v24, off
	v_lshlrev_b64 v[2:3], 2, v[4:5]
	v_mov_b32_e32 v4, v9
	v_mad_u64_u32 v[4:5], s[4:5], s3, v6, v[4:5]
	v_add_co_u32_e32 v2, vcc, v0, v2
	v_addc_co_u32_e32 v3, vcc, v1, v3, vcc
	v_pack_b32_f16 v5, v47, v46
	v_add_u32_e32 v6, 0x438, v21
	global_store_dword v[2:3], v5, off
	v_mov_b32_e32 v9, v4
	v_mad_u64_u32 v[4:5], s[4:5], s2, v6, 0
	v_lshlrev_b64 v[2:3], 2, v[8:9]
	v_pack_b32_f16 v24, v44, v42
	v_mad_u64_u32 v[5:6], s[4:5], s3, v6, v[5:6]
	v_add_u32_e32 v6, 0x5a0, v21
	v_mad_u64_u32 v[8:9], s[4:5], s2, v6, 0
	v_add_co_u32_e32 v2, vcc, v0, v2
	v_addc_co_u32_e32 v3, vcc, v1, v3, vcc
	global_store_dword v[2:3], v24, off
	v_lshlrev_b64 v[2:3], 2, v[4:5]
	v_mov_b32_e32 v4, v9
	v_mad_u64_u32 v[4:5], s[4:5], s3, v6, v[4:5]
	v_add_co_u32_e32 v2, vcc, v0, v2
	v_addc_co_u32_e32 v3, vcc, v1, v3, vcc
	v_pack_b32_f16 v5, v40, v38
	v_add_u32_e32 v6, 0x708, v21
	global_store_dword v[2:3], v5, off
	v_mov_b32_e32 v9, v4
	v_mad_u64_u32 v[4:5], s[4:5], s2, v6, 0
	v_lshlrev_b64 v[2:3], 2, v[8:9]
	v_pack_b32_f16 v8, v37, v35
	v_mad_u64_u32 v[5:6], s[4:5], s3, v6, v[5:6]
	v_add_u32_e32 v6, 0x12c, v7
	v_lshrrev_b32_e32 v7, 3, v6
	v_mul_hi_u32 v7, v7, s0
	v_add_co_u32_e32 v2, vcc, v0, v2
	v_addc_co_u32_e32 v3, vcc, v1, v3, vcc
	global_store_dword v[2:3], v8, off
	v_lshlrev_b64 v[2:3], 2, v[4:5]
	v_lshrrev_b32_e32 v4, 2, v7
	v_mul_u32_u24_e32 v5, 0x168, v4
	v_sub_u32_e32 v5, v6, v5
	v_mad_u32_u24 v8, v4, s1, v5
	v_mad_u64_u32 v[4:5], s[0:1], s2, v8, 0
	v_pack_b32_f16 v9, v32, v10
	v_add_u32_e32 v10, 0x168, v8
	v_mad_u64_u32 v[5:6], s[0:1], s3, v8, v[5:6]
	v_mad_u64_u32 v[6:7], s[0:1], s2, v10, 0
	v_add_co_u32_e32 v2, vcc, v0, v2
	v_addc_co_u32_e32 v3, vcc, v1, v3, vcc
	global_store_dword v[2:3], v9, off
	v_lshlrev_b64 v[2:3], 2, v[4:5]
	v_mov_b32_e32 v4, v7
	v_mad_u64_u32 v[4:5], s[0:1], s3, v10, v[4:5]
	v_add_co_u32_e32 v2, vcc, v0, v2
	v_addc_co_u32_e32 v3, vcc, v1, v3, vcc
	v_pack_b32_f16 v5, v23, v22
	v_mov_b32_e32 v7, v4
	global_store_dword v[2:3], v5, off
	v_lshlrev_b64 v[2:3], 2, v[6:7]
	v_add_u32_e32 v6, 0x2d0, v8
	v_mad_u64_u32 v[4:5], s[0:1], s2, v6, 0
	v_add_u32_e32 v10, 0x438, v8
	v_add_co_u32_e32 v2, vcc, v0, v2
	v_mad_u64_u32 v[5:6], s[0:1], s3, v6, v[5:6]
	v_mad_u64_u32 v[6:7], s[0:1], s2, v10, 0
	v_addc_co_u32_e32 v3, vcc, v1, v3, vcc
	v_pack_b32_f16 v9, v20, v19
	global_store_dword v[2:3], v9, off
	v_lshlrev_b64 v[2:3], 2, v[4:5]
	v_mov_b32_e32 v4, v7
	v_mad_u64_u32 v[4:5], s[0:1], s3, v10, v[4:5]
	v_add_co_u32_e32 v2, vcc, v0, v2
	v_addc_co_u32_e32 v3, vcc, v1, v3, vcc
	v_pack_b32_f16 v5, v18, v17
	v_mov_b32_e32 v7, v4
	global_store_dword v[2:3], v5, off
	v_lshlrev_b64 v[2:3], 2, v[6:7]
	v_add_u32_e32 v6, 0x5a0, v8
	v_mad_u64_u32 v[4:5], s[0:1], s2, v6, 0
	v_add_u32_e32 v8, 0x708, v8
	v_add_co_u32_e32 v2, vcc, v0, v2
	v_mad_u64_u32 v[5:6], s[0:1], s3, v6, v[5:6]
	v_mad_u64_u32 v[6:7], s[0:1], s2, v8, 0
	v_addc_co_u32_e32 v3, vcc, v1, v3, vcc
	v_pack_b32_f16 v9, v16, v15
	global_store_dword v[2:3], v9, off
	v_lshlrev_b64 v[2:3], 2, v[4:5]
	v_mov_b32_e32 v4, v7
	v_mad_u64_u32 v[4:5], s[0:1], s3, v8, v[4:5]
	v_add_co_u32_e32 v2, vcc, v0, v2
	v_addc_co_u32_e32 v3, vcc, v1, v3, vcc
	v_pack_b32_f16 v5, v14, v12
	v_mov_b32_e32 v7, v4
	global_store_dword v[2:3], v5, off
	v_lshlrev_b64 v[2:3], 2, v[6:7]
	v_add_co_u32_e32 v0, vcc, v0, v2
	v_addc_co_u32_e32 v1, vcc, v1, v3, vcc
	v_pack_b32_f16 v2, v13, v11
	global_store_dword v[0:1], v2, off
.LBB0_21:
	s_endpgm
	.section	.rodata,"a",@progbits
	.p2align	6, 0x0
	.amdhsa_kernel fft_rtc_back_len2160_factors_10_6_6_6_wgs_60_tpt_60_halfLds_half_op_CI_CI_sbrr_dirReg
		.amdhsa_group_segment_fixed_size 0
		.amdhsa_private_segment_fixed_size 0
		.amdhsa_kernarg_size 104
		.amdhsa_user_sgpr_count 6
		.amdhsa_user_sgpr_private_segment_buffer 1
		.amdhsa_user_sgpr_dispatch_ptr 0
		.amdhsa_user_sgpr_queue_ptr 0
		.amdhsa_user_sgpr_kernarg_segment_ptr 1
		.amdhsa_user_sgpr_dispatch_id 0
		.amdhsa_user_sgpr_flat_scratch_init 0
		.amdhsa_user_sgpr_private_segment_size 0
		.amdhsa_uses_dynamic_stack 0
		.amdhsa_system_sgpr_private_segment_wavefront_offset 0
		.amdhsa_system_sgpr_workgroup_id_x 1
		.amdhsa_system_sgpr_workgroup_id_y 0
		.amdhsa_system_sgpr_workgroup_id_z 0
		.amdhsa_system_sgpr_workgroup_info 0
		.amdhsa_system_vgpr_workitem_id 0
		.amdhsa_next_free_vgpr 134
		.amdhsa_next_free_sgpr 32
		.amdhsa_reserve_vcc 1
		.amdhsa_reserve_flat_scratch 0
		.amdhsa_float_round_mode_32 0
		.amdhsa_float_round_mode_16_64 0
		.amdhsa_float_denorm_mode_32 3
		.amdhsa_float_denorm_mode_16_64 3
		.amdhsa_dx10_clamp 1
		.amdhsa_ieee_mode 1
		.amdhsa_fp16_overflow 0
		.amdhsa_exception_fp_ieee_invalid_op 0
		.amdhsa_exception_fp_denorm_src 0
		.amdhsa_exception_fp_ieee_div_zero 0
		.amdhsa_exception_fp_ieee_overflow 0
		.amdhsa_exception_fp_ieee_underflow 0
		.amdhsa_exception_fp_ieee_inexact 0
		.amdhsa_exception_int_div_zero 0
	.end_amdhsa_kernel
	.text
.Lfunc_end0:
	.size	fft_rtc_back_len2160_factors_10_6_6_6_wgs_60_tpt_60_halfLds_half_op_CI_CI_sbrr_dirReg, .Lfunc_end0-fft_rtc_back_len2160_factors_10_6_6_6_wgs_60_tpt_60_halfLds_half_op_CI_CI_sbrr_dirReg
                                        ; -- End function
	.section	.AMDGPU.csdata,"",@progbits
; Kernel info:
; codeLenInByte = 22636
; NumSgprs: 36
; NumVgprs: 134
; ScratchSize: 0
; MemoryBound: 0
; FloatMode: 240
; IeeeMode: 1
; LDSByteSize: 0 bytes/workgroup (compile time only)
; SGPRBlocks: 4
; VGPRBlocks: 33
; NumSGPRsForWavesPerEU: 36
; NumVGPRsForWavesPerEU: 134
; Occupancy: 1
; WaveLimiterHint : 1
; COMPUTE_PGM_RSRC2:SCRATCH_EN: 0
; COMPUTE_PGM_RSRC2:USER_SGPR: 6
; COMPUTE_PGM_RSRC2:TRAP_HANDLER: 0
; COMPUTE_PGM_RSRC2:TGID_X_EN: 1
; COMPUTE_PGM_RSRC2:TGID_Y_EN: 0
; COMPUTE_PGM_RSRC2:TGID_Z_EN: 0
; COMPUTE_PGM_RSRC2:TIDIG_COMP_CNT: 0
	.type	__hip_cuid_809c8375d4acdb15,@object ; @__hip_cuid_809c8375d4acdb15
	.section	.bss,"aw",@nobits
	.globl	__hip_cuid_809c8375d4acdb15
__hip_cuid_809c8375d4acdb15:
	.byte	0                               ; 0x0
	.size	__hip_cuid_809c8375d4acdb15, 1

	.ident	"AMD clang version 19.0.0git (https://github.com/RadeonOpenCompute/llvm-project roc-6.4.0 25133 c7fe45cf4b819c5991fe208aaa96edf142730f1d)"
	.section	".note.GNU-stack","",@progbits
	.addrsig
	.addrsig_sym __hip_cuid_809c8375d4acdb15
	.amdgpu_metadata
---
amdhsa.kernels:
  - .args:
      - .actual_access:  read_only
        .address_space:  global
        .offset:         0
        .size:           8
        .value_kind:     global_buffer
      - .offset:         8
        .size:           8
        .value_kind:     by_value
      - .actual_access:  read_only
        .address_space:  global
        .offset:         16
        .size:           8
        .value_kind:     global_buffer
      - .actual_access:  read_only
        .address_space:  global
        .offset:         24
        .size:           8
        .value_kind:     global_buffer
      - .actual_access:  read_only
        .address_space:  global
        .offset:         32
        .size:           8
        .value_kind:     global_buffer
      - .offset:         40
        .size:           8
        .value_kind:     by_value
      - .actual_access:  read_only
        .address_space:  global
        .offset:         48
        .size:           8
        .value_kind:     global_buffer
      - .actual_access:  read_only
        .address_space:  global
        .offset:         56
        .size:           8
        .value_kind:     global_buffer
      - .offset:         64
        .size:           4
        .value_kind:     by_value
      - .actual_access:  read_only
        .address_space:  global
        .offset:         72
        .size:           8
        .value_kind:     global_buffer
      - .actual_access:  read_only
        .address_space:  global
        .offset:         80
        .size:           8
        .value_kind:     global_buffer
      - .actual_access:  read_only
        .address_space:  global
        .offset:         88
        .size:           8
        .value_kind:     global_buffer
      - .actual_access:  write_only
        .address_space:  global
        .offset:         96
        .size:           8
        .value_kind:     global_buffer
    .group_segment_fixed_size: 0
    .kernarg_segment_align: 8
    .kernarg_segment_size: 104
    .language:       OpenCL C
    .language_version:
      - 2
      - 0
    .max_flat_workgroup_size: 60
    .name:           fft_rtc_back_len2160_factors_10_6_6_6_wgs_60_tpt_60_halfLds_half_op_CI_CI_sbrr_dirReg
    .private_segment_fixed_size: 0
    .sgpr_count:     36
    .sgpr_spill_count: 0
    .symbol:         fft_rtc_back_len2160_factors_10_6_6_6_wgs_60_tpt_60_halfLds_half_op_CI_CI_sbrr_dirReg.kd
    .uniform_work_group_size: 1
    .uses_dynamic_stack: false
    .vgpr_count:     134
    .vgpr_spill_count: 0
    .wavefront_size: 64
amdhsa.target:   amdgcn-amd-amdhsa--gfx906
amdhsa.version:
  - 1
  - 2
...

	.end_amdgpu_metadata
